;; amdgpu-corpus repo=ROCm/rocFFT kind=compiled arch=gfx906 opt=O3
	.text
	.amdgcn_target "amdgcn-amd-amdhsa--gfx906"
	.amdhsa_code_object_version 6
	.protected	fft_rtc_back_len1170_factors_2_13_3_5_3_wgs_117_tpt_117_dp_op_CI_CI_sbrr_dirReg ; -- Begin function fft_rtc_back_len1170_factors_2_13_3_5_3_wgs_117_tpt_117_dp_op_CI_CI_sbrr_dirReg
	.globl	fft_rtc_back_len1170_factors_2_13_3_5_3_wgs_117_tpt_117_dp_op_CI_CI_sbrr_dirReg
	.p2align	8
	.type	fft_rtc_back_len1170_factors_2_13_3_5_3_wgs_117_tpt_117_dp_op_CI_CI_sbrr_dirReg,@function
fft_rtc_back_len1170_factors_2_13_3_5_3_wgs_117_tpt_117_dp_op_CI_CI_sbrr_dirReg: ; @fft_rtc_back_len1170_factors_2_13_3_5_3_wgs_117_tpt_117_dp_op_CI_CI_sbrr_dirReg
; %bb.0:
	s_load_dwordx4 s[16:19], s[4:5], 0x18
	s_load_dwordx4 s[8:11], s[4:5], 0x0
	;; [unrolled: 1-line block ×3, first 2 shown]
	v_mul_u32_u24_e32 v1, 0x231, v0
	v_add_u32_sdwa v6, s6, v1 dst_sel:DWORD dst_unused:UNUSED_PAD src0_sel:DWORD src1_sel:WORD_1
	s_waitcnt lgkmcnt(0)
	s_load_dwordx2 s[2:3], s[16:17], 0x0
	s_load_dwordx2 s[20:21], s[18:19], 0x0
	v_cmp_lt_u64_e64 s[0:1], s[10:11], 2
	v_mov_b32_e32 v1, 0
	v_mov_b32_e32 v4, 0
	;; [unrolled: 1-line block ×3, first 2 shown]
	s_and_b64 vcc, exec, s[0:1]
	v_mov_b32_e32 v5, 0
	s_cbranch_vccnz .LBB0_8
; %bb.1:
	s_load_dwordx2 s[0:1], s[4:5], 0x10
	s_add_u32 s6, s18, 8
	s_addc_u32 s7, s19, 0
	s_add_u32 s22, s16, 8
	v_mov_b32_e32 v4, 0
	s_addc_u32 s23, s17, 0
	v_mov_b32_e32 v5, 0
	s_waitcnt lgkmcnt(0)
	s_add_u32 s24, s0, 8
	v_mov_b32_e32 v57, v5
	s_addc_u32 s25, s1, 0
	s_mov_b64 s[26:27], 1
	v_mov_b32_e32 v56, v4
.LBB0_2:                                ; =>This Inner Loop Header: Depth=1
	s_load_dwordx2 s[28:29], s[24:25], 0x0
                                        ; implicit-def: $vgpr58_vgpr59
	s_waitcnt lgkmcnt(0)
	v_or_b32_e32 v2, s29, v7
	v_cmp_ne_u64_e32 vcc, 0, v[1:2]
	s_and_saveexec_b64 s[0:1], vcc
	s_xor_b64 s[30:31], exec, s[0:1]
	s_cbranch_execz .LBB0_4
; %bb.3:                                ;   in Loop: Header=BB0_2 Depth=1
	v_cvt_f32_u32_e32 v2, s28
	v_cvt_f32_u32_e32 v3, s29
	s_sub_u32 s0, 0, s28
	s_subb_u32 s1, 0, s29
	v_mac_f32_e32 v2, 0x4f800000, v3
	v_rcp_f32_e32 v2, v2
	v_mul_f32_e32 v2, 0x5f7ffffc, v2
	v_mul_f32_e32 v3, 0x2f800000, v2
	v_trunc_f32_e32 v3, v3
	v_mac_f32_e32 v2, 0xcf800000, v3
	v_cvt_u32_f32_e32 v3, v3
	v_cvt_u32_f32_e32 v2, v2
	v_mul_lo_u32 v8, s0, v3
	v_mul_hi_u32 v9, s0, v2
	v_mul_lo_u32 v11, s1, v2
	v_mul_lo_u32 v10, s0, v2
	v_add_u32_e32 v8, v9, v8
	v_add_u32_e32 v8, v8, v11
	v_mul_hi_u32 v9, v2, v10
	v_mul_lo_u32 v11, v2, v8
	v_mul_hi_u32 v13, v2, v8
	v_mul_hi_u32 v12, v3, v10
	v_mul_lo_u32 v10, v3, v10
	v_mul_hi_u32 v14, v3, v8
	v_add_co_u32_e32 v9, vcc, v9, v11
	v_addc_co_u32_e32 v11, vcc, 0, v13, vcc
	v_mul_lo_u32 v8, v3, v8
	v_add_co_u32_e32 v9, vcc, v9, v10
	v_addc_co_u32_e32 v9, vcc, v11, v12, vcc
	v_addc_co_u32_e32 v10, vcc, 0, v14, vcc
	v_add_co_u32_e32 v8, vcc, v9, v8
	v_addc_co_u32_e32 v9, vcc, 0, v10, vcc
	v_add_co_u32_e32 v2, vcc, v2, v8
	v_addc_co_u32_e32 v3, vcc, v3, v9, vcc
	v_mul_lo_u32 v8, s0, v3
	v_mul_hi_u32 v9, s0, v2
	v_mul_lo_u32 v10, s1, v2
	v_mul_lo_u32 v11, s0, v2
	v_add_u32_e32 v8, v9, v8
	v_add_u32_e32 v8, v8, v10
	v_mul_lo_u32 v12, v2, v8
	v_mul_hi_u32 v13, v2, v11
	v_mul_hi_u32 v14, v2, v8
	;; [unrolled: 1-line block ×3, first 2 shown]
	v_mul_lo_u32 v11, v3, v11
	v_mul_hi_u32 v9, v3, v8
	v_add_co_u32_e32 v12, vcc, v13, v12
	v_addc_co_u32_e32 v13, vcc, 0, v14, vcc
	v_mul_lo_u32 v8, v3, v8
	v_add_co_u32_e32 v11, vcc, v12, v11
	v_addc_co_u32_e32 v10, vcc, v13, v10, vcc
	v_addc_co_u32_e32 v9, vcc, 0, v9, vcc
	v_add_co_u32_e32 v8, vcc, v10, v8
	v_addc_co_u32_e32 v9, vcc, 0, v9, vcc
	v_add_co_u32_e32 v8, vcc, v2, v8
	v_addc_co_u32_e32 v9, vcc, v3, v9, vcc
	v_mad_u64_u32 v[2:3], s[0:1], v6, v9, 0
	v_mul_hi_u32 v10, v6, v8
	v_add_co_u32_e32 v10, vcc, v10, v2
	v_addc_co_u32_e32 v11, vcc, 0, v3, vcc
	v_mad_u64_u32 v[2:3], s[0:1], v7, v8, 0
	v_mad_u64_u32 v[8:9], s[0:1], v7, v9, 0
	v_add_co_u32_e32 v2, vcc, v10, v2
	v_addc_co_u32_e32 v2, vcc, v11, v3, vcc
	v_addc_co_u32_e32 v3, vcc, 0, v9, vcc
	v_add_co_u32_e32 v8, vcc, v2, v8
	v_addc_co_u32_e32 v9, vcc, 0, v3, vcc
	v_mul_lo_u32 v10, s29, v8
	v_mul_lo_u32 v11, s28, v9
	v_mad_u64_u32 v[2:3], s[0:1], s28, v8, 0
	v_add3_u32 v3, v3, v11, v10
	v_sub_u32_e32 v10, v7, v3
	v_mov_b32_e32 v11, s29
	v_sub_co_u32_e32 v2, vcc, v6, v2
	v_subb_co_u32_e64 v10, s[0:1], v10, v11, vcc
	v_subrev_co_u32_e64 v11, s[0:1], s28, v2
	v_subbrev_co_u32_e64 v10, s[0:1], 0, v10, s[0:1]
	v_cmp_le_u32_e64 s[0:1], s29, v10
	v_cndmask_b32_e64 v12, 0, -1, s[0:1]
	v_cmp_le_u32_e64 s[0:1], s28, v11
	v_cndmask_b32_e64 v11, 0, -1, s[0:1]
	v_cmp_eq_u32_e64 s[0:1], s29, v10
	v_cndmask_b32_e64 v10, v12, v11, s[0:1]
	v_add_co_u32_e64 v11, s[0:1], 2, v8
	v_addc_co_u32_e64 v12, s[0:1], 0, v9, s[0:1]
	v_add_co_u32_e64 v13, s[0:1], 1, v8
	v_addc_co_u32_e64 v14, s[0:1], 0, v9, s[0:1]
	v_subb_co_u32_e32 v3, vcc, v7, v3, vcc
	v_cmp_ne_u32_e64 s[0:1], 0, v10
	v_cmp_le_u32_e32 vcc, s29, v3
	v_cndmask_b32_e64 v10, v14, v12, s[0:1]
	v_cndmask_b32_e64 v12, 0, -1, vcc
	v_cmp_le_u32_e32 vcc, s28, v2
	v_cndmask_b32_e64 v2, 0, -1, vcc
	v_cmp_eq_u32_e32 vcc, s29, v3
	v_cndmask_b32_e32 v2, v12, v2, vcc
	v_cmp_ne_u32_e32 vcc, 0, v2
	v_cndmask_b32_e64 v2, v13, v11, s[0:1]
	v_cndmask_b32_e32 v59, v9, v10, vcc
	v_cndmask_b32_e32 v58, v8, v2, vcc
.LBB0_4:                                ;   in Loop: Header=BB0_2 Depth=1
	s_andn2_saveexec_b64 s[0:1], s[30:31]
	s_cbranch_execz .LBB0_6
; %bb.5:                                ;   in Loop: Header=BB0_2 Depth=1
	v_cvt_f32_u32_e32 v2, s28
	s_sub_i32 s30, 0, s28
	v_mov_b32_e32 v59, v1
	v_rcp_iflag_f32_e32 v2, v2
	v_mul_f32_e32 v2, 0x4f7ffffe, v2
	v_cvt_u32_f32_e32 v2, v2
	v_mul_lo_u32 v3, s30, v2
	v_mul_hi_u32 v3, v2, v3
	v_add_u32_e32 v2, v2, v3
	v_mul_hi_u32 v2, v6, v2
	v_mul_lo_u32 v3, v2, s28
	v_add_u32_e32 v8, 1, v2
	v_sub_u32_e32 v3, v6, v3
	v_subrev_u32_e32 v9, s28, v3
	v_cmp_le_u32_e32 vcc, s28, v3
	v_cndmask_b32_e32 v3, v3, v9, vcc
	v_cndmask_b32_e32 v2, v2, v8, vcc
	v_add_u32_e32 v8, 1, v2
	v_cmp_le_u32_e32 vcc, s28, v3
	v_cndmask_b32_e32 v58, v2, v8, vcc
.LBB0_6:                                ;   in Loop: Header=BB0_2 Depth=1
	s_or_b64 exec, exec, s[0:1]
	v_mul_lo_u32 v8, v59, s28
	v_mul_lo_u32 v9, v58, s29
	v_mad_u64_u32 v[2:3], s[0:1], v58, s28, 0
	s_load_dwordx2 s[0:1], s[22:23], 0x0
	s_load_dwordx2 s[28:29], s[6:7], 0x0
	v_add3_u32 v3, v3, v9, v8
	v_sub_co_u32_e32 v2, vcc, v6, v2
	v_subb_co_u32_e32 v3, vcc, v7, v3, vcc
	s_waitcnt lgkmcnt(0)
	v_mul_lo_u32 v6, s0, v3
	v_mul_lo_u32 v7, s1, v2
	v_mad_u64_u32 v[4:5], s[0:1], s0, v2, v[4:5]
	v_mul_lo_u32 v3, s28, v3
	v_mul_lo_u32 v8, s29, v2
	v_mad_u64_u32 v[56:57], s[0:1], s28, v2, v[56:57]
	s_add_u32 s26, s26, 1
	s_addc_u32 s27, s27, 0
	s_add_u32 s6, s6, 8
	v_add3_u32 v57, v8, v57, v3
	s_addc_u32 s7, s7, 0
	v_mov_b32_e32 v2, s10
	s_add_u32 s22, s22, 8
	v_mov_b32_e32 v3, s11
	s_addc_u32 s23, s23, 0
	v_cmp_ge_u64_e32 vcc, s[26:27], v[2:3]
	s_add_u32 s24, s24, 8
	v_add3_u32 v5, v7, v5, v6
	s_addc_u32 s25, s25, 0
	s_cbranch_vccnz .LBB0_9
; %bb.7:                                ;   in Loop: Header=BB0_2 Depth=1
	v_mov_b32_e32 v6, v58
	v_mov_b32_e32 v7, v59
	s_branch .LBB0_2
.LBB0_8:
	v_mov_b32_e32 v57, v5
	v_mov_b32_e32 v59, v7
	;; [unrolled: 1-line block ×4, first 2 shown]
.LBB0_9:
	s_load_dwordx2 s[0:1], s[4:5], 0x28
	s_lshl_b64 s[10:11], s[10:11], 3
	s_add_u32 s4, s18, s10
	s_addc_u32 s5, s19, s11
                                        ; implicit-def: $vgpr192
                                        ; implicit-def: $vgpr194
                                        ; implicit-def: $vgpr195
                                        ; implicit-def: $vgpr193
                                        ; implicit-def: $vgpr196
	s_waitcnt lgkmcnt(0)
	v_cmp_gt_u64_e32 vcc, s[0:1], v[58:59]
	v_cmp_le_u64_e64 s[0:1], s[0:1], v[58:59]
	s_and_saveexec_b64 s[6:7], s[0:1]
	s_xor_b64 s[0:1], exec, s[6:7]
; %bb.10:
	s_mov_b32 s6, 0x2302303
	v_mul_hi_u32 v1, v0, s6
                                        ; implicit-def: $vgpr4_vgpr5
	v_mul_u32_u24_e32 v1, 0x75, v1
	v_sub_u32_e32 v192, v0, v1
	v_add_u32_e32 v194, 0x75, v192
	v_add_u32_e32 v195, 0xea, v192
	;; [unrolled: 1-line block ×4, first 2 shown]
                                        ; implicit-def: $vgpr0
; %bb.11:
	s_or_saveexec_b64 s[6:7], s[0:1]
                                        ; implicit-def: $vgpr34_vgpr35
                                        ; implicit-def: $vgpr38_vgpr39
                                        ; implicit-def: $vgpr26_vgpr27
                                        ; implicit-def: $vgpr30_vgpr31
                                        ; implicit-def: $vgpr14_vgpr15
                                        ; implicit-def: $vgpr22_vgpr23
                                        ; implicit-def: $vgpr10_vgpr11
                                        ; implicit-def: $vgpr18_vgpr19
                                        ; implicit-def: $vgpr6_vgpr7
                                        ; implicit-def: $vgpr2_vgpr3
	s_xor_b64 exec, exec, s[6:7]
	s_cbranch_execz .LBB0_13
; %bb.12:
	s_add_u32 s0, s16, s10
	s_mov_b32 s10, 0x2302303
	s_addc_u32 s1, s17, s11
	v_mul_hi_u32 v1, v0, s10
	s_load_dwordx2 s[0:1], s[0:1], 0x0
	v_mul_u32_u24_e32 v1, 0x75, v1
	v_sub_u32_e32 v192, v0, v1
	s_waitcnt lgkmcnt(0)
	v_mul_lo_u32 v8, s1, v58
	v_mad_u64_u32 v[0:1], s[10:11], s2, v192, 0
	v_mul_lo_u32 v9, s0, v59
	v_mad_u64_u32 v[2:3], s[0:1], s0, v58, 0
	v_add_u32_e32 v194, 0x75, v192
	v_add_u32_e32 v195, 0xea, v192
	v_mad_u64_u32 v[6:7], s[0:1], s3, v192, v[1:2]
	v_add3_u32 v3, v3, v9, v8
	v_lshlrev_b64 v[2:3], 4, v[2:3]
	v_mov_b32_e32 v1, v6
	v_mov_b32_e32 v6, s13
	v_add_co_u32_e64 v7, s[0:1], s12, v2
	v_add_u32_e32 v8, 0x249, v192
	v_addc_co_u32_e64 v6, s[0:1], v6, v3, s[0:1]
	v_lshlrev_b64 v[2:3], 4, v[4:5]
	v_mad_u64_u32 v[4:5], s[0:1], s2, v8, 0
	v_add_co_u32_e64 v9, s[0:1], v7, v2
	v_mov_b32_e32 v2, v5
	v_addc_co_u32_e64 v10, s[0:1], v6, v3, s[0:1]
	v_mad_u64_u32 v[2:3], s[0:1], s3, v8, v[2:3]
	v_mad_u64_u32 v[6:7], s[0:1], s2, v194, 0
	v_lshlrev_b64 v[0:1], 4, v[0:1]
	v_mov_b32_e32 v5, v2
	v_add_co_u32_e64 v40, s[0:1], v9, v0
	v_mov_b32_e32 v2, v7
	v_addc_co_u32_e64 v41, s[0:1], v10, v1, s[0:1]
	v_lshlrev_b64 v[0:1], 4, v[4:5]
	v_mad_u64_u32 v[2:3], s[0:1], s3, v194, v[2:3]
	v_add_u32_e32 v5, 0x2be, v192
	v_mad_u64_u32 v[3:4], s[0:1], s2, v5, 0
	v_add_co_u32_e64 v42, s[0:1], v9, v0
	v_mov_b32_e32 v7, v2
	v_mov_b32_e32 v2, v4
	v_addc_co_u32_e64 v43, s[0:1], v10, v1, s[0:1]
	v_mad_u64_u32 v[4:5], s[0:1], s3, v5, v[2:3]
	v_lshlrev_b64 v[0:1], 4, v[6:7]
	v_mad_u64_u32 v[5:6], s[0:1], s2, v195, 0
	v_add_co_u32_e64 v44, s[0:1], v9, v0
	v_mov_b32_e32 v2, v6
	v_addc_co_u32_e64 v45, s[0:1], v10, v1, s[0:1]
	v_lshlrev_b64 v[0:1], 4, v[3:4]
	v_mad_u64_u32 v[2:3], s[0:1], s3, v195, v[2:3]
	v_add_u32_e32 v7, 0x333, v192
	v_mad_u64_u32 v[3:4], s[0:1], s2, v7, 0
	v_add_co_u32_e64 v46, s[0:1], v9, v0
	v_mov_b32_e32 v6, v2
	v_mov_b32_e32 v2, v4
	v_addc_co_u32_e64 v47, s[0:1], v10, v1, s[0:1]
	v_lshlrev_b64 v[0:1], 4, v[5:6]
	v_mad_u64_u32 v[4:5], s[0:1], s3, v7, v[2:3]
	v_add_u32_e32 v193, 0x15f, v192
	v_mad_u64_u32 v[5:6], s[0:1], s2, v193, 0
	v_add_co_u32_e64 v48, s[0:1], v9, v0
	v_mov_b32_e32 v2, v6
	v_addc_co_u32_e64 v49, s[0:1], v10, v1, s[0:1]
	v_lshlrev_b64 v[0:1], 4, v[3:4]
	v_mad_u64_u32 v[2:3], s[0:1], s3, v193, v[2:3]
	v_add_u32_e32 v7, 0x3a8, v192
	v_mad_u64_u32 v[3:4], s[0:1], s2, v7, 0
	v_add_co_u32_e64 v50, s[0:1], v9, v0
	v_mov_b32_e32 v6, v2
	v_mov_b32_e32 v2, v4
	v_addc_co_u32_e64 v51, s[0:1], v10, v1, s[0:1]
	v_lshlrev_b64 v[0:1], 4, v[5:6]
	v_mad_u64_u32 v[4:5], s[0:1], s3, v7, v[2:3]
	v_add_u32_e32 v196, 0x1d4, v192
	v_mad_u64_u32 v[5:6], s[0:1], s2, v196, 0
	v_add_co_u32_e64 v52, s[0:1], v9, v0
	v_mov_b32_e32 v2, v6
	v_addc_co_u32_e64 v53, s[0:1], v10, v1, s[0:1]
	v_lshlrev_b64 v[0:1], 4, v[3:4]
	v_mad_u64_u32 v[2:3], s[0:1], s3, v196, v[2:3]
	v_add_u32_e32 v7, 0x41d, v192
	v_mad_u64_u32 v[3:4], s[0:1], s2, v7, 0
	v_add_co_u32_e64 v54, s[0:1], v9, v0
	v_mov_b32_e32 v6, v2
	v_mov_b32_e32 v2, v4
	v_addc_co_u32_e64 v55, s[0:1], v10, v1, s[0:1]
	v_lshlrev_b64 v[0:1], 4, v[5:6]
	v_mad_u64_u32 v[4:5], s[0:1], s3, v7, v[2:3]
	v_add_co_u32_e64 v60, s[0:1], v9, v0
	v_addc_co_u32_e64 v61, s[0:1], v10, v1, s[0:1]
	v_lshlrev_b64 v[0:1], 4, v[3:4]
	v_add_co_u32_e64 v62, s[0:1], v9, v0
	v_addc_co_u32_e64 v63, s[0:1], v10, v1, s[0:1]
	global_load_dwordx4 v[0:3], v[40:41], off
	global_load_dwordx4 v[4:7], v[42:43], off
	global_load_dwordx4 v[16:19], v[44:45], off
	global_load_dwordx4 v[8:11], v[46:47], off
	global_load_dwordx4 v[20:23], v[48:49], off
	global_load_dwordx4 v[12:15], v[50:51], off
	global_load_dwordx4 v[28:31], v[52:53], off
	global_load_dwordx4 v[24:27], v[54:55], off
	global_load_dwordx4 v[36:39], v[60:61], off
	global_load_dwordx4 v[32:35], v[62:63], off
.LBB0_13:
	s_or_b64 exec, exec, s[6:7]
	s_waitcnt vmcnt(8)
	v_add_f64 v[4:5], v[0:1], -v[4:5]
	v_add_f64 v[6:7], v[2:3], -v[6:7]
	s_waitcnt vmcnt(6)
	v_add_f64 v[8:9], v[16:17], -v[8:9]
	v_add_f64 v[10:11], v[18:19], -v[10:11]
	;; [unrolled: 3-line block ×5, first 2 shown]
	v_fma_f64 v[0:1], v[0:1], 2.0, -v[4:5]
	v_fma_f64 v[2:3], v[2:3], 2.0, -v[6:7]
	;; [unrolled: 1-line block ×10, first 2 shown]
	s_load_dwordx2 s[4:5], s[4:5], 0x0
	v_lshl_add_u32 v40, v192, 5, 0
	v_lshl_add_u32 v41, v194, 5, 0
	ds_write_b128 v40, v[0:3]
	ds_write_b128 v40, v[4:7] offset:16
	ds_write_b128 v41, v[16:19]
	ds_write_b128 v41, v[8:11] offset:16
	v_lshl_add_u32 v41, v195, 5, 0
	ds_write_b128 v41, v[20:23]
	ds_write_b128 v41, v[12:15] offset:16
	v_lshl_add_u32 v41, v193, 5, 0
	s_movk_i32 s0, 0x5a
	ds_write_b128 v41, v[28:31]
	ds_write_b128 v41, v[24:27] offset:16
	v_lshl_add_u32 v41, v196, 5, 0
	v_cmp_gt_u32_e64 s[0:1], s0, v192
	ds_write_b128 v41, v[36:39]
	ds_write_b128 v41, v[32:35] offset:16
	s_waitcnt lgkmcnt(0)
	s_barrier
	s_waitcnt lgkmcnt(0)
                                        ; implicit-def: $vgpr50_vgpr51
                                        ; implicit-def: $vgpr46_vgpr47
                                        ; implicit-def: $vgpr42_vgpr43
	s_and_saveexec_b64 s[2:3], s[0:1]
	s_cbranch_execz .LBB0_15
; %bb.14:
	v_lshlrev_b32_e32 v0, 4, v192
	v_sub_u32_e32 v48, v40, v0
	ds_read_b128 v[0:3], v48
	ds_read_b128 v[4:7], v48 offset:1440
	ds_read_b128 v[16:19], v48 offset:2880
	;; [unrolled: 1-line block ×12, first 2 shown]
.LBB0_15:
	s_or_b64 exec, exec, s[2:3]
	v_and_b32_e32 v197, 1, v192
	v_mul_u32_u24_e32 v52, 12, v197
	v_lshlrev_b32_e32 v88, 4, v52
	global_load_dwordx4 v[52:55], v88, s[8:9]
	global_load_dwordx4 v[60:63], v88, s[8:9] offset:16
	global_load_dwordx4 v[64:67], v88, s[8:9] offset:32
	;; [unrolled: 1-line block ×11, first 2 shown]
	s_mov_b32 s6, 0x42a4c3d2
	s_mov_b32 s2, 0x1ea71119
	;; [unrolled: 1-line block ×34, first 2 shown]
	s_waitcnt vmcnt(0) lgkmcnt(0)
	s_barrier
	v_mul_f64 v[88:89], v[6:7], v[54:55]
	v_mul_f64 v[54:55], v[4:5], v[54:55]
	;; [unrolled: 1-line block ×15, first 2 shown]
	v_fma_f64 v[104:105], v[6:7], v[52:53], -v[54:55]
	v_fma_f64 v[70:71], v[20:21], v[68:69], v[116:117]
	v_mul_f64 v[114:115], v[10:11], v[66:67]
	v_mul_f64 v[66:67], v[8:9], v[66:67]
	v_fma_f64 v[20:21], v[50:51], v[110:111], -v[138:139]
	v_mul_f64 v[122:123], v[30:31], v[78:79]
	v_mul_f64 v[124:125], v[28:29], v[78:79]
	;; [unrolled: 1-line block ×5, first 2 shown]
	v_fma_f64 v[98:99], v[4:5], v[52:53], v[88:89]
	v_fma_f64 v[96:97], v[18:19], v[60:61], -v[62:63]
	v_fma_f64 v[78:79], v[22:23], v[68:69], -v[118:119]
	;; [unrolled: 1-line block ×3, first 2 shown]
	v_fma_f64 v[36:37], v[36:37], v[84:85], v[130:131]
	v_fma_f64 v[38:39], v[38:39], v[84:85], -v[86:87]
	v_fma_f64 v[22:23], v[48:49], v[110:111], v[112:113]
	v_fma_f64 v[26:27], v[46:47], v[106:107], -v[108:109]
	v_fma_f64 v[34:35], v[34:35], v[90:91], -v[92:93]
	v_add_f64 v[92:93], v[104:105], -v[20:21]
	v_add_f64 v[84:85], v[104:105], v[20:21]
	v_mul_f64 v[120:121], v[14:15], v[74:75]
	v_mul_f64 v[74:75], v[12:13], v[74:75]
	v_fma_f64 v[94:95], v[16:17], v[60:61], v[94:95]
	v_fma_f64 v[88:89], v[10:11], v[64:65], -v[66:67]
	v_fma_f64 v[60:61], v[28:29], v[76:77], v[122:123]
	v_fma_f64 v[62:63], v[30:31], v[76:77], -v[124:125]
	v_fma_f64 v[52:53], v[24:25], v[80:81], v[126:127]
	v_fma_f64 v[32:33], v[32:33], v[90:91], v[132:133]
	;; [unrolled: 1-line block ×3, first 2 shown]
	v_fma_f64 v[30:31], v[42:43], v[100:101], -v[102:103]
	v_add_f64 v[76:77], v[98:99], v[22:23]
	v_add_f64 v[86:87], v[96:97], -v[26:27]
	v_add_f64 v[128:129], v[98:99], -v[22:23]
	v_add_f64 v[80:81], v[96:97], v[26:27]
	v_mul_f64 v[132:133], v[92:93], s[6:7]
	v_mul_f64 v[136:137], v[84:85], s[2:3]
	v_fma_f64 v[82:83], v[8:9], v[64:65], v[114:115]
	v_fma_f64 v[64:65], v[12:13], v[72:73], v[120:121]
	v_fma_f64 v[66:67], v[14:15], v[72:73], -v[74:75]
	v_fma_f64 v[28:29], v[40:41], v[100:101], v[134:135]
	v_add_f64 v[50:51], v[94:95], v[24:25]
	v_add_f64 v[126:127], v[94:95], -v[24:25]
	v_add_f64 v[90:91], v[88:89], -v[30:31]
	v_add_f64 v[72:73], v[88:89], v[30:31]
	v_mul_f64 v[130:131], v[86:87], s[16:17]
	v_mul_f64 v[134:135], v[80:81], s[10:11]
	v_fma_f64 v[4:5], v[76:77], s[2:3], -v[132:133]
	v_fma_f64 v[6:7], v[128:129], s[6:7], v[136:137]
	v_add_f64 v[44:45], v[82:83], v[28:29]
	v_add_f64 v[124:125], v[82:83], -v[28:29]
	v_add_f64 v[100:101], v[78:79], -v[34:35]
	v_add_f64 v[68:69], v[78:79], v[34:35]
	v_mul_f64 v[114:115], v[90:91], s[18:19]
	v_mul_f64 v[138:139], v[72:73], s[12:13]
	v_fma_f64 v[8:9], v[50:51], s[10:11], -v[130:131]
	v_fma_f64 v[10:11], v[126:127], s[16:17], v[134:135]
	v_add_f64 v[4:5], v[0:1], v[4:5]
	v_add_f64 v[6:7], v[2:3], v[6:7]
	v_add_f64 v[42:43], v[70:71], v[32:33]
	v_add_f64 v[108:109], v[70:71], -v[32:33]
	v_add_f64 v[102:103], v[66:67], -v[38:39]
	v_add_f64 v[48:49], v[66:67], v[38:39]
	v_mul_f64 v[116:117], v[100:101], s[34:35]
	v_mul_f64 v[140:141], v[68:69], s[22:23]
	v_fma_f64 v[12:13], v[44:45], s[12:13], -v[114:115]
	v_fma_f64 v[14:15], v[124:125], s[18:19], v[138:139]
	v_add_f64 v[4:5], v[8:9], v[4:5]
	v_add_f64 v[6:7], v[10:11], v[6:7]
	v_mul_f64 v[148:149], v[92:93], s[24:25]
	v_mul_f64 v[154:155], v[84:85], s[26:27]
	v_add_f64 v[40:41], v[64:65], v[36:37]
	v_add_f64 v[110:111], v[64:65], -v[36:37]
	v_mul_f64 v[112:113], v[102:103], s[38:39]
	v_mul_f64 v[142:143], v[48:49], s[26:27]
	v_fma_f64 v[8:9], v[42:43], s[22:23], -v[116:117]
	v_fma_f64 v[10:11], v[108:109], s[34:35], v[140:141]
	v_add_f64 v[4:5], v[12:13], v[4:5]
	v_add_f64 v[6:7], v[14:15], v[6:7]
	v_mul_f64 v[146:147], v[86:87], s[18:19]
	v_mul_f64 v[150:151], v[80:81], s[12:13]
	v_fma_f64 v[16:17], v[76:77], s[26:27], -v[148:149]
	v_fma_f64 v[18:19], v[128:129], s[24:25], v[154:155]
	v_fma_f64 v[12:13], v[40:41], s[26:27], -v[112:113]
	v_fma_f64 v[14:15], v[110:111], s[38:39], v[142:143]
	v_add_f64 v[4:5], v[8:9], v[4:5]
	v_add_f64 v[6:7], v[10:11], v[6:7]
	v_mul_f64 v[144:145], v[90:91], s[42:43]
	v_fma_f64 v[8:9], v[50:51], s[12:13], -v[146:147]
	v_fma_f64 v[10:11], v[126:127], s[18:19], v[150:151]
	v_add_f64 v[16:17], v[0:1], v[16:17]
	v_add_f64 v[18:19], v[2:3], v[18:19]
	v_mul_f64 v[152:153], v[72:73], s[10:11]
	v_mul_f64 v[182:183], v[92:93], s[16:17]
	;; [unrolled: 1-line block ×3, first 2 shown]
	v_add_f64 v[4:5], v[12:13], v[4:5]
	v_add_f64 v[6:7], v[14:15], v[6:7]
	v_fma_f64 v[12:13], v[44:45], s[10:11], -v[144:145]
	v_add_f64 v[8:9], v[8:9], v[16:17]
	v_add_f64 v[10:11], v[10:11], v[18:19]
	v_fma_f64 v[14:15], v[124:125], s[42:43], v[152:153]
	v_fma_f64 v[160:161], v[76:77], s[10:11], -v[182:183]
	v_mul_f64 v[184:185], v[86:87], s[34:35]
	v_fma_f64 v[162:163], v[128:129], s[16:17], v[188:189]
	v_mul_f64 v[190:191], v[80:81], s[22:23]
	v_mul_f64 v[158:159], v[68:69], s[28:29]
	v_add_f64 v[8:9], v[12:13], v[8:9]
	v_mul_f64 v[180:181], v[90:91], s[30:31]
	v_add_f64 v[10:11], v[14:15], v[10:11]
	v_add_f64 v[12:13], v[0:1], v[160:161]
	v_fma_f64 v[14:15], v[50:51], s[22:23], -v[184:185]
	v_add_f64 v[164:165], v[2:3], v[162:163]
	v_fma_f64 v[166:167], v[126:127], s[34:35], v[190:191]
	v_mul_f64 v[186:187], v[72:73], s[28:29]
	v_mul_f64 v[156:157], v[100:101], s[30:31]
	v_fma_f64 v[170:171], v[108:109], s[30:31], v[158:159]
	v_mul_f64 v[172:173], v[68:69], s[26:27]
	v_add_f64 v[106:107], v[62:63], -v[54:55]
	v_add_f64 v[12:13], v[14:15], v[12:13]
	v_add_f64 v[74:75], v[62:63], v[54:55]
	;; [unrolled: 1-line block ×3, first 2 shown]
	v_fma_f64 v[166:167], v[44:45], s[28:29], -v[180:181]
	v_fma_f64 v[174:175], v[124:125], s[30:31], v[186:187]
	v_mul_f64 v[164:165], v[100:101], s[24:25]
	v_fma_f64 v[168:169], v[42:43], s[28:29], -v[156:157]
	v_mul_f64 v[160:161], v[102:103], s[6:7]
	v_mul_f64 v[162:163], v[48:49], s[2:3]
	v_add_f64 v[10:11], v[170:171], v[10:11]
	v_fma_f64 v[178:179], v[108:109], s[24:25], v[172:173]
	v_add_f64 v[12:13], v[166:167], v[12:13]
	v_add_f64 v[14:15], v[174:175], v[14:15]
	v_fma_f64 v[176:177], v[42:43], s[26:27], -v[164:165]
	v_mul_f64 v[170:171], v[102:103], s[46:47]
	v_mul_f64 v[174:175], v[48:49], s[12:13]
	v_add_f64 v[46:47], v[60:61], v[52:53]
	v_mul_f64 v[118:119], v[106:107], s[30:31]
	v_add_f64 v[122:123], v[60:61], -v[52:53]
	v_mul_f64 v[120:121], v[74:75], s[28:29]
	v_add_f64 v[8:9], v[168:169], v[8:9]
	v_fma_f64 v[198:199], v[40:41], s[2:3], -v[160:161]
	v_fma_f64 v[200:201], v[110:111], s[6:7], v[162:163]
	v_mul_f64 v[166:167], v[106:107], s[40:41]
	v_mul_f64 v[168:169], v[74:75], s[22:23]
	v_add_f64 v[12:13], v[176:177], v[12:13]
	v_add_f64 v[14:15], v[178:179], v[14:15]
	v_fma_f64 v[202:203], v[40:41], s[12:13], -v[170:171]
	v_fma_f64 v[204:205], v[110:111], s[46:47], v[174:175]
	v_mul_f64 v[176:177], v[106:107], s[44:45]
	v_mul_f64 v[178:179], v[74:75], s[2:3]
	v_fma_f64 v[16:17], v[46:47], s[28:29], -v[118:119]
	v_fma_f64 v[18:19], v[122:123], s[30:31], v[120:121]
	v_add_f64 v[8:9], v[198:199], v[8:9]
	v_add_f64 v[10:11], v[200:201], v[10:11]
	v_fma_f64 v[198:199], v[46:47], s[22:23], -v[166:167]
	v_fma_f64 v[200:201], v[122:123], s[40:41], v[168:169]
	v_add_f64 v[202:203], v[202:203], v[12:13]
	v_add_f64 v[204:205], v[204:205], v[14:15]
	;; [unrolled: 4-line block ×3, first 2 shown]
	v_add_f64 v[4:5], v[198:199], v[8:9]
	v_add_f64 v[6:7], v[200:201], v[10:11]
	;; [unrolled: 1-line block ×4, first 2 shown]
	s_and_saveexec_b64 s[36:37], s[0:1]
	s_cbranch_execz .LBB0_17
; %bb.16:
	v_mul_f64 v[16:17], v[128:129], s[18:19]
	v_mul_f64 v[18:19], v[92:93], s[18:19]
	;; [unrolled: 1-line block ×8, first 2 shown]
	v_fma_f64 v[200:201], v[84:85], s[12:13], v[16:17]
	v_fma_f64 v[204:205], v[76:77], s[12:13], -v[18:19]
	v_fma_f64 v[224:225], v[80:81], s[28:29], v[198:199]
	v_fma_f64 v[228:229], v[50:51], s[28:29], -v[202:203]
	;; [unrolled: 2-line block ×3, first 2 shown]
	v_fma_f64 v[236:237], v[44:45], s[22:23], -v[226:227]
	v_fma_f64 v[238:239], v[68:69], s[2:3], v[230:231]
	v_add_f64 v[200:201], v[2:3], v[200:201]
	v_add_f64 v[204:205], v[0:1], v[204:205]
	v_fma_f64 v[198:199], v[80:81], s[28:29], -v[198:199]
	v_fma_f64 v[18:19], v[76:77], s[12:13], v[18:19]
	v_fma_f64 v[222:223], v[72:73], s[22:23], -v[222:223]
	v_add_f64 v[16:17], v[2:3], v[16:17]
	v_fma_f64 v[202:203], v[50:51], s[28:29], v[202:203]
	v_fma_f64 v[230:231], v[68:69], s[2:3], -v[230:231]
	v_add_f64 v[200:201], v[224:225], v[200:201]
	v_mul_f64 v[224:225], v[100:101], s[44:45]
	v_add_f64 v[204:205], v[228:229], v[204:205]
	v_mul_f64 v[228:229], v[122:123], s[38:39]
	v_add_f64 v[18:19], v[0:1], v[18:19]
	v_add_f64 v[16:17], v[198:199], v[16:17]
	v_fma_f64 v[226:227], v[44:45], s[22:23], v[226:227]
	v_mul_f64 v[244:245], v[90:91], s[6:7]
	v_add_f64 v[200:201], v[234:235], v[200:201]
	v_mul_f64 v[234:235], v[102:103], s[16:17]
	v_fma_f64 v[240:241], v[42:43], s[2:3], -v[224:225]
	v_add_f64 v[204:205], v[236:237], v[204:205]
	v_fma_f64 v[236:237], v[48:49], s[10:11], v[232:233]
	v_add_f64 v[16:17], v[222:223], v[16:17]
	v_add_f64 v[202:203], v[202:203], v[18:19]
	v_fma_f64 v[232:233], v[48:49], s[10:11], -v[232:233]
	v_add_f64 v[198:199], v[238:239], v[200:201]
	v_mul_f64 v[200:201], v[106:107], s[38:39]
	v_fma_f64 v[238:239], v[40:41], s[10:11], -v[234:235]
	v_add_f64 v[204:205], v[240:241], v[204:205]
	v_fma_f64 v[240:241], v[74:75], s[26:27], v[228:229]
	v_add_f64 v[230:231], v[230:231], v[16:17]
	v_add_f64 v[202:203], v[226:227], v[202:203]
	v_mul_f64 v[226:227], v[126:127], s[38:39]
	v_add_f64 v[198:199], v[236:237], v[198:199]
	v_fma_f64 v[222:223], v[46:47], s[26:27], -v[200:201]
	v_mul_f64 v[216:217], v[128:129], s[16:17]
	v_add_f64 v[204:205], v[238:239], v[204:205]
	v_mul_f64 v[238:239], v[128:129], s[40:41]
	v_mul_f64 v[210:211], v[76:77], s[26:27]
	;; [unrolled: 1-line block ×3, first 2 shown]
	v_fma_f64 v[242:243], v[80:81], s[26:27], v[226:227]
	v_add_f64 v[18:19], v[240:241], v[198:199]
	v_fma_f64 v[198:199], v[42:43], s[2:3], v[224:225]
	v_add_f64 v[224:225], v[232:233], v[230:231]
	v_add_f64 v[16:17], v[222:223], v[204:205]
	v_mul_f64 v[204:205], v[92:93], s[40:41]
	v_fma_f64 v[222:223], v[74:75], s[26:27], -v[228:229]
	v_fma_f64 v[228:229], v[84:85], s[22:23], v[238:239]
	v_fma_f64 v[230:231], v[40:41], s[10:11], v[234:235]
	v_mul_f64 v[232:233], v[86:87], s[38:39]
	v_add_f64 v[198:199], v[198:199], v[202:203]
	v_mul_f64 v[240:241], v[124:125], s[6:7]
	v_fma_f64 v[202:203], v[46:47], s[26:27], v[200:201]
	v_fma_f64 v[234:235], v[76:77], s[22:23], -v[204:205]
	v_add_f64 v[200:201], v[222:223], v[224:225]
	v_add_f64 v[228:229], v[2:3], v[228:229]
	v_mul_f64 v[222:223], v[108:109], s[46:47]
	v_fma_f64 v[246:247], v[50:51], s[26:27], -v[232:233]
	v_add_f64 v[198:199], v[230:231], v[198:199]
	v_fma_f64 v[224:225], v[72:73], s[2:3], v[240:241]
	v_mul_f64 v[230:231], v[100:101], s[46:47]
	v_add_f64 v[234:235], v[0:1], v[234:235]
	v_fma_f64 v[204:205], v[76:77], s[22:23], v[204:205]
	v_add_f64 v[228:229], v[242:243], v[228:229]
	v_fma_f64 v[242:243], v[44:45], s[2:3], -v[244:245]
	v_fma_f64 v[226:227], v[80:81], s[26:27], -v[226:227]
	v_add_f64 v[198:199], v[202:203], v[198:199]
	v_fma_f64 v[202:203], v[84:85], s[22:23], -v[238:239]
	v_fma_f64 v[238:239], v[68:69], s[12:13], v[222:223]
	v_add_f64 v[234:235], v[246:247], v[234:235]
	v_fma_f64 v[232:233], v[50:51], s[26:27], v[232:233]
	v_add_f64 v[224:225], v[224:225], v[228:229]
	v_fma_f64 v[228:229], v[42:43], s[12:13], -v[230:231]
	v_add_f64 v[204:205], v[0:1], v[204:205]
	v_fma_f64 v[240:241], v[72:73], s[2:3], -v[240:241]
	v_add_f64 v[202:203], v[2:3], v[202:203]
	v_fma_f64 v[244:245], v[44:45], s[2:3], v[244:245]
	v_add_f64 v[234:235], v[242:243], v[234:235]
	v_mul_f64 v[242:243], v[102:103], s[30:31]
	v_add_f64 v[224:225], v[238:239], v[224:225]
	v_mul_f64 v[238:239], v[106:107], s[16:17]
	;; [unrolled: 2-line block ×4, first 2 shown]
	v_add_f64 v[228:229], v[228:229], v[234:235]
	v_fma_f64 v[234:235], v[40:41], s[28:29], -v[242:243]
	v_add_f64 v[188:189], v[188:189], -v[216:217]
	v_add_f64 v[104:105], v[2:3], v[104:105]
	v_add_f64 v[98:99], v[0:1], v[98:99]
	v_mul_f64 v[236:237], v[50:51], s[12:13]
	v_add_f64 v[240:241], v[240:241], v[202:203]
	v_mul_f64 v[226:227], v[126:127], s[18:19]
	v_mul_f64 v[252:253], v[50:51], s[22:23]
	v_add_f64 v[228:229], v[234:235], v[228:229]
	v_fma_f64 v[234:235], v[46:47], s[10:11], -v[238:239]
	v_fma_f64 v[222:223], v[68:69], s[12:13], -v[222:223]
	v_add_f64 v[190:191], v[190:191], -v[254:255]
	v_add_f64 v[188:189], v[2:3], v[188:189]
	v_add_f64 v[182:183], v[214:215], v[182:183]
	v_add_f64 v[154:155], v[154:155], -v[212:213]
	v_add_f64 v[148:149], v[210:211], v[148:149]
	v_add_f64 v[96:97], v[104:105], v[96:97]
	;; [unrolled: 1-line block ×3, first 2 shown]
	v_fma_f64 v[228:229], v[42:43], s[12:13], v[230:231]
	v_add_f64 v[230:231], v[244:245], v[232:233]
	v_add_f64 v[94:95], v[98:99], v[94:95]
	;; [unrolled: 1-line block ×3, first 2 shown]
	v_mul_f64 v[240:241], v[44:45], s[10:11]
	v_mul_f64 v[244:245], v[124:125], s[42:43]
	v_fma_f64 v[242:243], v[40:41], s[28:29], v[242:243]
	v_add_f64 v[188:189], v[190:191], v[188:189]
	v_mul_f64 v[190:191], v[108:109], s[24:25]
	v_add_f64 v[228:229], v[228:229], v[230:231]
	v_mul_f64 v[230:231], v[124:125], s[30:31]
	v_add_f64 v[184:185], v[252:253], v[184:185]
	v_add_f64 v[182:183], v[0:1], v[182:183]
	v_add_f64 v[150:151], v[150:151], -v[226:227]
	v_add_f64 v[154:155], v[2:3], v[154:155]
	v_add_f64 v[146:147], v[236:237], v[146:147]
	v_add_f64 v[148:149], v[0:1], v[148:149]
	v_add_f64 v[88:89], v[96:97], v[88:89]
	v_add_f64 v[186:187], v[186:187], -v[230:231]
	v_add_f64 v[82:83], v[94:95], v[82:83]
	v_mul_f64 v[216:217], v[44:45], s[28:29]
	v_mul_f64 v[214:215], v[42:43], s[28:29]
	v_add_f64 v[228:229], v[242:243], v[228:229]
	v_mul_f64 v[242:243], v[108:109], s[30:31]
	v_add_f64 v[182:183], v[184:185], v[182:183]
	v_mul_f64 v[184:185], v[110:111], s[46:47]
	v_add_f64 v[152:153], v[152:153], -v[244:245]
	v_add_f64 v[150:151], v[150:151], v[154:155]
	v_add_f64 v[144:145], v[240:241], v[144:145]
	;; [unrolled: 1-line block ×3, first 2 shown]
	v_add_f64 v[172:173], v[172:173], -v[190:191]
	v_add_f64 v[186:187], v[186:187], v[188:189]
	v_add_f64 v[78:79], v[88:89], v[78:79]
	;; [unrolled: 1-line block ×3, first 2 shown]
	v_mul_f64 v[248:249], v[110:111], s[30:31]
	v_add_f64 v[180:181], v[216:217], v[180:181]
	v_mul_f64 v[216:217], v[40:41], s[2:3]
	v_mul_f64 v[210:211], v[110:111], s[6:7]
	;; [unrolled: 1-line block ×3, first 2 shown]
	v_add_f64 v[158:159], v[158:159], -v[242:243]
	v_add_f64 v[150:151], v[152:153], v[150:151]
	v_add_f64 v[152:153], v[214:215], v[156:157]
	;; [unrolled: 1-line block ×3, first 2 shown]
	v_add_f64 v[146:147], v[174:175], -v[184:185]
	v_add_f64 v[156:157], v[172:173], v[186:187]
	v_mul_f64 v[244:245], v[122:123], s[30:31]
	s_mov_b32 s31, 0xbfddbe06
	v_add_f64 v[66:67], v[78:79], v[66:67]
	v_add_f64 v[64:65], v[70:71], v[64:65]
	v_mul_f64 v[206:207], v[76:77], s[2:3]
	v_mul_f64 v[208:209], v[128:129], s[6:7]
	;; [unrolled: 1-line block ×3, first 2 shown]
	v_fma_f64 v[250:251], v[48:49], s[28:29], v[248:249]
	v_mul_f64 v[154:155], v[46:47], s[22:23]
	v_add_f64 v[162:163], v[162:163], -v[210:211]
	v_add_f64 v[150:151], v[158:159], v[150:151]
	v_add_f64 v[158:159], v[216:217], v[160:161]
	;; [unrolled: 1-line block ×3, first 2 shown]
	v_add_f64 v[152:153], v[178:179], -v[190:191]
	v_add_f64 v[156:157], v[146:147], v[156:157]
	v_mul_f64 v[128:129], v[128:129], s[30:31]
	v_mul_f64 v[70:71], v[92:93], s[30:31]
	v_add_f64 v[62:63], v[66:67], v[62:63]
	v_add_f64 v[60:61], v[64:65], v[60:61]
	v_mul_f64 v[218:219], v[50:51], s[10:11]
	v_mul_f64 v[220:221], v[126:127], s[16:17]
	v_add_f64 v[224:225], v[250:251], v[224:225]
	v_fma_f64 v[250:251], v[74:75], s[10:11], v[246:247]
	v_add_f64 v[162:163], v[162:163], v[150:151]
	v_add_f64 v[166:167], v[154:155], v[166:167]
	;; [unrolled: 1-line block ×4, first 2 shown]
	v_add_f64 v[136:137], v[136:137], -v[208:209]
	v_add_f64 v[132:133], v[206:207], v[132:133]
	v_mul_f64 v[126:127], v[126:127], s[6:7]
	v_fma_f64 v[156:157], v[84:85], s[28:29], v[128:129]
	v_fma_f64 v[84:85], v[84:85], s[28:29], -v[128:129]
	v_mul_f64 v[86:87], v[86:87], s[6:7]
	v_fma_f64 v[64:65], v[76:77], s[28:29], v[70:71]
	v_fma_f64 v[70:71], v[76:77], s[28:29], -v[70:71]
	v_add_f64 v[54:55], v[62:63], v[54:55]
	v_add_f64 v[52:53], v[60:61], v[52:53]
	;; [unrolled: 1-line block ×3, first 2 shown]
	v_mul_f64 v[224:225], v[44:45], s[12:13]
	v_mul_f64 v[232:233], v[124:125], s[18:19]
	v_fma_f64 v[234:235], v[48:49], s[28:29], -v[248:249]
	v_add_f64 v[152:153], v[166:167], v[158:159]
	v_add_f64 v[134:135], v[134:135], -v[220:221]
	v_add_f64 v[136:137], v[2:3], v[136:137]
	v_add_f64 v[130:131], v[218:219], v[130:131]
	;; [unrolled: 1-line block ×3, first 2 shown]
	v_mul_f64 v[124:125], v[124:125], s[24:25]
	v_fma_f64 v[158:159], v[80:81], s[2:3], v[126:127]
	v_add_f64 v[156:157], v[2:3], v[156:157]
	v_mul_f64 v[66:67], v[90:91], s[24:25]
	v_fma_f64 v[76:77], v[80:81], s[2:3], -v[126:127]
	v_add_f64 v[2:3], v[2:3], v[84:85]
	v_fma_f64 v[80:81], v[50:51], s[2:3], v[86:87]
	v_add_f64 v[60:61], v[0:1], v[64:65]
	v_fma_f64 v[50:51], v[50:51], s[2:3], -v[86:87]
	v_add_f64 v[0:1], v[0:1], v[70:71]
	v_add_f64 v[38:39], v[54:55], v[38:39]
	;; [unrolled: 1-line block ×4, first 2 shown]
	v_mul_f64 v[234:235], v[42:43], s[22:23]
	v_mul_f64 v[248:249], v[108:109], s[34:35]
	v_add_f64 v[138:139], v[138:139], -v[232:233]
	v_add_f64 v[134:135], v[134:135], v[136:137]
	v_add_f64 v[114:115], v[224:225], v[114:115]
	;; [unrolled: 1-line block ×3, first 2 shown]
	v_mul_f64 v[108:109], v[108:109], s[16:17]
	v_mul_f64 v[100:101], v[100:101], s[16:17]
	v_fma_f64 v[62:63], v[72:73], s[26:27], -v[124:125]
	v_add_f64 v[2:3], v[76:77], v[2:3]
	v_fma_f64 v[64:65], v[44:45], s[26:27], v[66:67]
	v_add_f64 v[52:53], v[80:81], v[60:61]
	v_mul_f64 v[230:231], v[42:43], s[26:27]
	v_fma_f64 v[132:133], v[72:73], s[26:27], v[124:125]
	v_add_f64 v[136:137], v[158:159], v[156:157]
	v_fma_f64 v[44:45], v[44:45], s[26:27], -v[66:67]
	v_add_f64 v[0:1], v[50:51], v[0:1]
	v_add_f64 v[34:35], v[38:39], v[34:35]
	;; [unrolled: 1-line block ×3, first 2 shown]
	v_mul_f64 v[212:213], v[110:111], s[38:39]
	v_add_f64 v[140:141], v[140:141], -v[248:249]
	v_add_f64 v[98:99], v[138:139], v[134:135]
	v_add_f64 v[104:105], v[234:235], v[116:117]
	;; [unrolled: 1-line block ×3, first 2 shown]
	v_mul_f64 v[110:111], v[110:111], s[40:41]
	v_mul_f64 v[92:93], v[102:103], s[40:41]
	v_fma_f64 v[50:51], v[68:69], s[10:11], -v[108:109]
	v_add_f64 v[2:3], v[62:63], v[2:3]
	v_fma_f64 v[54:55], v[42:43], s[10:11], v[100:101]
	v_add_f64 v[36:37], v[64:65], v[52:53]
	v_mul_f64 v[250:251], v[40:41], s[26:27]
	v_mul_f64 v[226:227], v[40:41], s[12:13]
	v_add_f64 v[164:165], v[230:231], v[164:165]
	v_add_f64 v[180:181], v[180:181], v[182:183]
	v_fma_f64 v[116:117], v[68:69], s[10:11], v[108:109]
	v_add_f64 v[130:131], v[132:133], v[136:137]
	v_fma_f64 v[38:39], v[42:43], s[10:11], -v[100:101]
	v_add_f64 v[0:1], v[44:45], v[0:1]
	v_add_f64 v[30:31], v[34:35], v[30:31]
	;; [unrolled: 1-line block ×5, first 2 shown]
	v_mul_f64 v[104:105], v[122:123], s[18:19]
	v_mul_f64 v[78:79], v[106:107], s[18:19]
	v_fma_f64 v[42:43], v[48:49], s[22:23], -v[110:111]
	v_add_f64 v[2:3], v[50:51], v[2:3]
	v_fma_f64 v[44:45], v[40:41], s[22:23], v[92:93]
	v_add_f64 v[32:33], v[54:55], v[36:37]
	v_mul_f64 v[236:237], v[46:47], s[28:29]
	v_add_f64 v[142:143], v[142:143], -v[212:213]
	v_add_f64 v[96:97], v[250:251], v[112:113]
	v_mul_f64 v[240:241], v[122:123], s[40:41]
	v_add_f64 v[170:171], v[226:227], v[170:171]
	v_add_f64 v[164:165], v[164:165], v[180:181]
	v_mul_f64 v[148:149], v[46:47], s[2:3]
	v_fma_f64 v[112:113], v[48:49], s[22:23], v[110:111]
	v_add_f64 v[114:115], v[116:117], v[130:131]
	v_fma_f64 v[34:35], v[40:41], s[22:23], -v[92:93]
	v_add_f64 v[0:1], v[38:39], v[0:1]
	v_add_f64 v[26:27], v[30:31], v[26:27]
	v_add_f64 v[30:31], v[28:29], v[24:25]
	v_fma_f64 v[36:37], v[74:75], s[12:13], -v[104:105]
	v_add_f64 v[38:39], v[42:43], v[2:3]
	v_fma_f64 v[40:41], v[46:47], s[12:13], v[78:79]
	v_add_f64 v[32:33], v[44:45], v[32:33]
	v_add_f64 v[82:83], v[120:121], -v[244:245]
	v_add_f64 v[88:89], v[142:143], v[94:95]
	v_add_f64 v[94:95], v[236:237], v[118:119]
	;; [unrolled: 1-line block ×4, first 2 shown]
	v_add_f64 v[164:165], v[168:169], -v[240:241]
	v_add_f64 v[148:149], v[148:149], v[176:177]
	v_fma_f64 v[246:247], v[74:75], s[10:11], -v[246:247]
	v_fma_f64 v[238:239], v[46:47], s[10:11], v[238:239]
	v_fma_f64 v[98:99], v[74:75], s[12:13], v[104:105]
	v_add_f64 v[112:113], v[112:113], v[114:115]
	v_fma_f64 v[42:43], v[46:47], s[12:13], -v[78:79]
	v_add_f64 v[34:35], v[34:35], v[0:1]
	v_add_f64 v[28:29], v[26:27], v[20:21]
	;; [unrolled: 1-line block ×9, first 2 shown]
	v_lshrrev_b32_e32 v20, 1, v192
	v_add_f64 v[146:147], v[246:247], v[222:223]
	v_add_f64 v[144:145], v[238:239], v[228:229]
	v_mul_u32_u24_e32 v20, 26, v20
	v_or_b32_e32 v20, v20, v197
	v_lshl_add_u32 v20, v20, 4, 0
	v_add_f64 v[32:33], v[98:99], v[112:113]
	v_add_f64 v[30:31], v[42:43], v[34:35]
	ds_write_b128 v20, v[26:29]
	ds_write_b128 v20, v[22:25] offset:32
	ds_write_b128 v20, v[0:3] offset:64
	;; [unrolled: 1-line block ×12, first 2 shown]
.LBB0_17:
	s_or_b64 exec, exec, s[36:37]
	v_lshl_add_u32 v48, v192, 4, 0
	v_lshl_add_u32 v51, v195, 4, 0
	s_waitcnt lgkmcnt(0)
	s_barrier
	ds_read_b128 v[0:3], v48
	ds_read_b128 v[24:27], v48 offset:6240
	v_lshl_add_u32 v50, v194, 4, 0
	ds_read_b128 v[32:35], v48 offset:12480
	ds_read_b128 v[28:31], v48 offset:14352
	ds_read_b128 v[16:19], v51
	ds_read_b128 v[44:47], v48 offset:8112
	ds_read_b128 v[36:39], v48 offset:9984
	ds_read_b128 v[20:23], v50
	ds_read_b128 v[40:43], v48 offset:16224
	v_cmp_gt_u32_e64 s[0:1], 39, v192
	v_lshl_add_u32 v49, v193, 4, 0
	s_and_saveexec_b64 s[2:3], s[0:1]
	s_cbranch_execz .LBB0_19
; %bb.18:
	ds_read_b128 v[8:11], v49
	ds_read_b128 v[4:7], v48 offset:11856
	ds_read_b128 v[12:15], v48 offset:18096
.LBB0_19:
	s_or_b64 exec, exec, s[2:3]
	s_movk_i32 s2, 0x4f
	v_mul_lo_u16_sdwa v52, v192, s2 dst_sel:DWORD dst_unused:UNUSED_PAD src0_sel:BYTE_0 src1_sel:DWORD
	v_lshrrev_b16_e32 v106, 11, v52
	v_mul_lo_u16_e32 v52, 26, v106
	v_sub_u16_e32 v107, v192, v52
	v_mov_b32_e32 v52, 5
	v_lshlrev_b32_sdwa v53, v52, v107 dst_sel:DWORD dst_unused:UNUSED_PAD src0_sel:DWORD src1_sel:BYTE_0
	global_load_dwordx4 v[60:63], v53, s[8:9] offset:400
	global_load_dwordx4 v[64:67], v53, s[8:9] offset:384
	v_mul_lo_u16_sdwa v53, v194, s2 dst_sel:DWORD dst_unused:UNUSED_PAD src0_sel:BYTE_0 src1_sel:DWORD
	v_lshrrev_b16_e32 v108, 11, v53
	v_mul_lo_u16_e32 v53, 26, v108
	v_sub_u16_e32 v109, v194, v53
	v_lshlrev_b32_sdwa v52, v52, v109 dst_sel:DWORD dst_unused:UNUSED_PAD src0_sel:DWORD src1_sel:BYTE_0
	s_movk_i32 s2, 0x4ec5
	global_load_dwordx4 v[68:71], v52, s[8:9] offset:400
	global_load_dwordx4 v[72:75], v52, s[8:9] offset:384
	v_mul_u32_u24_sdwa v52, v195, s2 dst_sel:DWORD dst_unused:UNUSED_PAD src0_sel:WORD_0 src1_sel:DWORD
	v_lshrrev_b32_e32 v110, 19, v52
	v_mul_lo_u16_e32 v52, 26, v110
	v_sub_u16_e32 v111, v195, v52
	v_lshlrev_b32_e32 v52, 5, v111
	global_load_dwordx4 v[76:79], v52, s[8:9] offset:400
	global_load_dwordx4 v[80:83], v52, s[8:9] offset:384
	v_mul_u32_u24_sdwa v52, v193, s2 dst_sel:DWORD dst_unused:UNUSED_PAD src0_sel:WORD_0 src1_sel:DWORD
	v_lshrrev_b32_e32 v52, 19, v52
	v_mul_lo_u16_e32 v53, 26, v52
	v_sub_u16_e32 v53, v193, v53
	v_lshlrev_b32_e32 v54, 5, v53
	global_load_dwordx4 v[84:87], v54, s[8:9] offset:384
	global_load_dwordx4 v[88:91], v54, s[8:9] offset:400
	s_mov_b32 s2, 0xe8584caa
	s_mov_b32 s3, 0xbfebb67a
	;; [unrolled: 1-line block ×4, first 2 shown]
	s_waitcnt vmcnt(0) lgkmcnt(0)
	s_barrier
	v_mul_f64 v[92:93], v[34:35], v[62:63]
	v_mul_f64 v[54:55], v[26:27], v[66:67]
	;; [unrolled: 1-line block ×8, first 2 shown]
	v_fma_f64 v[54:55], v[24:25], v[64:65], v[54:55]
	v_fma_f64 v[64:65], v[26:27], v[64:65], -v[66:67]
	v_mul_f64 v[100:101], v[42:43], v[78:79]
	v_mul_f64 v[98:99], v[38:39], v[82:83]
	;; [unrolled: 1-line block ×4, first 2 shown]
	v_fma_f64 v[32:33], v[32:33], v[60:61], v[92:93]
	v_fma_f64 v[34:35], v[34:35], v[60:61], -v[62:63]
	v_mul_f64 v[102:103], v[6:7], v[86:87]
	v_mul_f64 v[86:87], v[4:5], v[86:87]
	;; [unrolled: 1-line block ×4, first 2 shown]
	v_fma_f64 v[44:45], v[44:45], v[72:73], v[94:95]
	v_fma_f64 v[46:47], v[46:47], v[72:73], -v[74:75]
	v_fma_f64 v[60:61], v[28:29], v[68:69], v[96:97]
	v_fma_f64 v[62:63], v[30:31], v[68:69], -v[70:71]
	v_fma_f64 v[28:29], v[36:37], v[80:81], v[98:99]
	v_fma_f64 v[36:37], v[40:41], v[76:77], v[100:101]
	;; [unrolled: 1-line block ×3, first 2 shown]
	v_fma_f64 v[26:27], v[6:7], v[84:85], -v[86:87]
	v_fma_f64 v[12:13], v[12:13], v[88:89], v[104:105]
	v_fma_f64 v[14:15], v[14:15], v[88:89], -v[90:91]
	v_fma_f64 v[30:31], v[38:39], v[80:81], -v[82:83]
	;; [unrolled: 1-line block ×3, first 2 shown]
	v_add_f64 v[6:7], v[54:55], v[32:33]
	v_add_f64 v[40:41], v[64:65], -v[34:35]
	v_add_f64 v[42:43], v[2:3], v[64:65]
	v_add_f64 v[64:65], v[64:65], v[34:35]
	;; [unrolled: 1-line block ×4, first 2 shown]
	v_add_f64 v[70:71], v[46:47], -v[62:63]
	v_add_f64 v[72:73], v[22:23], v[46:47]
	v_add_f64 v[46:47], v[46:47], v[62:63]
	;; [unrolled: 1-line block ×6, first 2 shown]
	v_add_f64 v[54:55], v[54:55], -v[32:33]
	v_add_f64 v[66:67], v[20:21], v[44:45]
	v_add_f64 v[74:75], v[44:45], -v[60:61]
	v_add_f64 v[44:45], v[16:17], v[28:29]
	v_add_f64 v[80:81], v[18:19], v[30:31]
	v_fma_f64 v[0:1], v[6:7], -0.5, v[0:1]
	v_fma_f64 v[2:3], v[64:65], -0.5, v[2:3]
	v_add_f64 v[84:85], v[28:29], -v[36:37]
	v_add_f64 v[28:29], v[4:5], v[32:33]
	v_fma_f64 v[4:5], v[68:69], -0.5, v[20:21]
	v_fma_f64 v[6:7], v[46:47], -0.5, v[22:23]
	v_add_f64 v[78:79], v[30:31], -v[38:39]
	v_add_f64 v[88:89], v[26:27], -v[14:15]
	;; [unrolled: 1-line block ×3, first 2 shown]
	v_add_f64 v[30:31], v[42:43], v[34:35]
	v_add_f64 v[34:35], v[72:73], v[62:63]
	v_fma_f64 v[16:17], v[76:77], -0.5, v[16:17]
	v_fma_f64 v[72:73], v[86:87], -0.5, v[8:9]
	;; [unrolled: 1-line block ×4, first 2 shown]
	v_add_f64 v[20:21], v[44:45], v[36:37]
	v_add_f64 v[22:23], v[80:81], v[38:39]
	v_fma_f64 v[36:37], v[40:41], s[2:3], v[0:1]
	v_fma_f64 v[38:39], v[54:55], s[6:7], v[2:3]
	v_add_f64 v[32:33], v[66:67], v[60:61]
	v_fma_f64 v[40:41], v[40:41], s[6:7], v[0:1]
	v_fma_f64 v[42:43], v[54:55], s[2:3], v[2:3]
	;; [unrolled: 1-line block ×13, first 2 shown]
	v_mov_b32_e32 v16, 4
	v_fma_f64 v[70:71], v[84:85], s[2:3], v[18:19]
	v_mul_u32_u24_e32 v17, 0x4e0, v106
	v_lshlrev_b32_sdwa v18, v16, v107 dst_sel:DWORD dst_unused:UNUSED_PAD src0_sel:DWORD src1_sel:BYTE_0
	v_add3_u32 v17, 0, v17, v18
	ds_write_b128 v17, v[28:31]
	ds_write_b128 v17, v[36:39] offset:416
	ds_write_b128 v17, v[40:43] offset:832
	v_mul_u32_u24_e32 v17, 0x4e0, v108
	v_lshlrev_b32_sdwa v18, v16, v109 dst_sel:DWORD dst_unused:UNUSED_PAD src0_sel:DWORD src1_sel:BYTE_0
	v_add3_u32 v17, 0, v17, v18
	ds_write_b128 v17, v[32:35]
	ds_write_b128 v17, v[44:47] offset:416
	ds_write_b128 v17, v[60:63] offset:832
	v_mul_u32_u24_e32 v17, 0x4e0, v110
	v_lshlrev_b32_e32 v18, 4, v111
	v_add3_u32 v17, 0, v17, v18
	ds_write_b128 v17, v[20:23]
	ds_write_b128 v17, v[64:67] offset:416
	ds_write_b128 v17, v[68:71] offset:832
	s_and_saveexec_b64 s[2:3], s[0:1]
	s_cbranch_execz .LBB0_21
; %bb.20:
	v_add_f64 v[10:11], v[10:11], v[26:27]
	v_add_f64 v[8:9], v[8:9], v[24:25]
	v_add_f64 v[10:11], v[10:11], v[14:15]
	v_add_f64 v[8:9], v[8:9], v[12:13]
	v_mul_lo_u16_e32 v12, 0x4e, v52
	v_lshlrev_b32_e32 v13, 4, v53
	v_lshlrev_b32_e32 v12, 4, v12
	v_add3_u32 v12, 0, v13, v12
	ds_write_b128 v12, v[0:3] offset:416
	ds_write_b128 v12, v[8:11]
	ds_write_b128 v12, v[4:7] offset:832
.LBB0_21:
	s_or_b64 exec, exec, s[2:3]
	s_movk_i32 s2, 0x4e
	v_add_u32_e32 v8, 0xffffffb2, v192
	v_cmp_gt_u32_e64 s[2:3], s2, v192
	v_cndmask_b32_e64 v47, v8, v192, s[2:3]
	v_lshlrev_b32_e32 v8, 2, v47
	v_mov_b32_e32 v9, 0
	v_lshlrev_b64 v[8:9], 4, v[8:9]
	v_mov_b32_e32 v10, s9
	v_add_co_u32_e64 v25, s[2:3], s8, v8
	v_addc_co_u32_e64 v26, s[2:3], v10, v9, s[2:3]
	s_waitcnt lgkmcnt(0)
	s_barrier
	global_load_dwordx4 v[8:11], v[25:26], off offset:1264
	global_load_dwordx4 v[12:15], v[25:26], off offset:1248
	;; [unrolled: 1-line block ×4, first 2 shown]
	v_lshrrev_b16_e32 v25, 1, v194
	v_and_b32_e32 v25, 0x7f, v25
	v_mul_lo_u16_e32 v25, 0xd3, v25
	v_lshrrev_b16_e32 v106, 13, v25
	v_mul_lo_u16_e32 v25, 0x4e, v106
	v_sub_u16_e32 v107, v194, v25
	v_mov_b32_e32 v25, 6
	v_lshlrev_b32_sdwa v41, v25, v107 dst_sel:DWORD dst_unused:UNUSED_PAD src0_sel:DWORD src1_sel:BYTE_0
	global_load_dwordx4 v[25:28], v41, s[8:9] offset:1216
	global_load_dwordx4 v[29:32], v41, s[8:9] offset:1232
	;; [unrolled: 1-line block ×4, first 2 shown]
	v_lshl_add_u32 v45, v196, 4, 0
	ds_read_b128 v[41:44], v48
	ds_read_b128 v[52:55], v48 offset:5616
	ds_read_b128 v[60:63], v48 offset:11232
	;; [unrolled: 1-line block ×5, first 2 shown]
	ds_read_b128 v[76:79], v50
	ds_read_b128 v[80:83], v48 offset:16848
	ds_read_b128 v[84:87], v51
	ds_read_b128 v[88:91], v45
	s_mov_b32 s10, 0x134454ff
	s_mov_b32 s11, 0xbfee6f0e
	;; [unrolled: 1-line block ×10, first 2 shown]
	s_waitcnt vmcnt(0) lgkmcnt(0)
	s_barrier
	v_mul_f64 v[96:97], v[70:71], v[10:11]
	v_mul_f64 v[94:95], v[62:63], v[14:15]
	;; [unrolled: 1-line block ×16, first 2 shown]
	v_fma_f64 v[45:46], v[84:85], v[21:22], v[45:46]
	v_fma_f64 v[21:22], v[86:87], v[21:22], -v[23:24]
	v_fma_f64 v[23:24], v[88:89], v[17:18], v[92:93]
	v_fma_f64 v[17:18], v[90:91], v[17:18], -v[19:20]
	;; [unrolled: 2-line block ×8, first 2 shown]
	v_add_f64 v[25:26], v[41:42], v[45:46]
	v_add_f64 v[27:28], v[23:24], v[19:20]
	v_add_f64 v[33:34], v[45:46], -v[23:24]
	v_add_f64 v[37:38], v[14:15], -v[19:20]
	v_add_f64 v[66:67], v[45:46], v[14:15]
	v_add_f64 v[72:73], v[43:44], v[21:22]
	;; [unrolled: 1-line block ×3, first 2 shown]
	v_add_f64 v[29:30], v[21:22], -v[8:9]
	v_add_f64 v[31:32], v[17:18], -v[12:13]
	;; [unrolled: 1-line block ×7, first 2 shown]
	v_add_f64 v[86:87], v[21:22], v[8:9]
	v_add_f64 v[88:89], v[17:18], -v[21:22]
	v_add_f64 v[21:22], v[54:55], v[62:63]
	v_add_f64 v[23:24], v[25:26], v[23:24]
	v_fma_f64 v[25:26], v[27:28], -0.5, v[41:42]
	v_add_f64 v[27:28], v[33:34], v[37:38]
	v_fma_f64 v[33:34], v[66:67], -0.5, v[41:42]
	v_add_f64 v[17:18], v[72:73], v[17:18]
	v_fma_f64 v[41:42], v[74:75], -0.5, v[43:44]
	v_add_f64 v[92:93], v[76:77], v[10:11]
	v_add_f64 v[37:38], v[68:69], v[70:71]
	v_fma_f64 v[43:44], v[86:87], -0.5, v[43:44]
	v_fma_f64 v[68:69], v[21:22], -0.5, v[76:77]
	v_fma_f64 v[21:22], v[29:30], s[10:11], v[25:26]
	v_fma_f64 v[25:26], v[29:30], s[16:17], v[25:26]
	v_fma_f64 v[70:71], v[31:32], s[16:17], v[33:34]
	v_fma_f64 v[33:34], v[31:32], s[10:11], v[33:34]
	v_add_f64 v[19:20], v[23:24], v[19:20]
	v_add_f64 v[17:18], v[17:18], v[12:13]
	v_fma_f64 v[23:24], v[45:46], s[16:17], v[41:42]
	v_add_f64 v[84:85], v[8:9], -v[12:13]
	v_fma_f64 v[41:42], v[45:46], s[10:11], v[41:42]
	v_add_f64 v[90:91], v[12:13], -v[8:9]
	v_add_f64 v[94:95], v[52:53], -v[39:40]
	v_fma_f64 v[21:22], v[31:32], s[2:3], v[21:22]
	v_fma_f64 v[25:26], v[31:32], s[12:13], v[25:26]
	;; [unrolled: 1-line block ×5, first 2 shown]
	v_add_f64 v[12:13], v[19:20], v[14:15]
	v_add_f64 v[14:15], v[17:18], v[8:9]
	v_fma_f64 v[8:9], v[80:81], s[12:13], v[23:24]
	v_fma_f64 v[19:20], v[80:81], s[16:17], v[43:44]
	v_add_f64 v[23:24], v[92:93], v[54:55]
	v_add_f64 v[66:67], v[82:83], v[84:85]
	v_fma_f64 v[41:42], v[80:81], s[2:3], v[41:42]
	v_add_f64 v[70:71], v[10:11], v[64:65]
	v_fma_f64 v[17:18], v[27:28], s[6:7], v[21:22]
	v_fma_f64 v[21:22], v[27:28], s[6:7], v[25:26]
	;; [unrolled: 1-line block ×5, first 2 shown]
	v_add_f64 v[43:44], v[60:61], -v[35:36]
	v_add_f64 v[31:32], v[10:11], -v[54:55]
	;; [unrolled: 1-line block ×3, first 2 shown]
	v_fma_f64 v[33:34], v[45:46], s[12:13], v[33:34]
	v_add_f64 v[72:73], v[88:89], v[90:91]
	v_fma_f64 v[45:46], v[45:46], s[2:3], v[19:20]
	v_add_f64 v[74:75], v[23:24], v[62:63]
	v_fma_f64 v[19:20], v[66:67], s[6:7], v[8:9]
	v_fma_f64 v[8:9], v[70:71], -0.5, v[76:77]
	v_fma_f64 v[23:24], v[66:67], s[6:7], v[41:42]
	v_add_f64 v[41:42], v[60:61], v[35:36]
	v_add_f64 v[70:71], v[52:53], v[39:40]
	v_fma_f64 v[80:81], v[43:44], s[2:3], v[27:28]
	v_add_f64 v[82:83], v[31:32], v[37:38]
	v_fma_f64 v[27:28], v[72:73], s[6:7], v[33:34]
	v_fma_f64 v[31:32], v[72:73], s[6:7], v[45:46]
	v_add_f64 v[33:34], v[74:75], v[64:65]
	v_fma_f64 v[45:46], v[94:95], s[16:17], v[68:69]
	v_add_f64 v[74:75], v[78:79], v[52:53]
	v_fma_f64 v[66:67], v[43:44], s[16:17], v[8:9]
	v_add_f64 v[68:69], v[54:55], -v[10:11]
	v_add_f64 v[72:73], v[62:63], -v[64:65]
	v_fma_f64 v[41:42], v[41:42], -0.5, v[78:79]
	v_add_f64 v[10:11], v[10:11], -v[64:65]
	v_add_f64 v[54:55], v[54:55], -v[62:63]
	v_fma_f64 v[62:63], v[70:71], -0.5, v[78:79]
	v_fma_f64 v[45:46], v[43:44], s[12:13], v[45:46]
	v_fma_f64 v[8:9], v[43:44], s[10:11], v[8:9]
	v_add_f64 v[43:44], v[74:75], v[60:61]
	v_fma_f64 v[64:65], v[94:95], s[2:3], v[66:67]
	v_add_f64 v[66:67], v[68:69], v[72:73]
	v_fma_f64 v[68:69], v[10:11], s[16:17], v[41:42]
	v_add_f64 v[70:71], v[52:53], -v[60:61]
	v_add_f64 v[72:73], v[39:40], -v[35:36]
	v_fma_f64 v[74:75], v[54:55], s[10:11], v[62:63]
	v_add_f64 v[52:53], v[60:61], -v[52:53]
	v_add_f64 v[60:61], v[35:36], -v[39:40]
	v_fma_f64 v[41:42], v[10:11], s[10:11], v[41:42]
	v_fma_f64 v[62:63], v[54:55], s[16:17], v[62:63]
	v_add_f64 v[35:36], v[43:44], v[35:36]
	v_fma_f64 v[43:44], v[54:55], s[12:13], v[68:69]
	v_add_f64 v[68:69], v[70:71], v[72:73]
	v_fma_f64 v[70:71], v[10:11], s[12:13], v[74:75]
	v_fma_f64 v[76:77], v[94:95], s[12:13], v[8:9]
	v_add_f64 v[60:61], v[52:53], v[60:61]
	v_fma_f64 v[54:55], v[54:55], s[2:3], v[41:42]
	;; [unrolled: 3-line block ×3, first 2 shown]
	v_fma_f64 v[39:40], v[68:69], s[6:7], v[43:44]
	v_fma_f64 v[41:42], v[66:67], s[6:7], v[64:65]
	s_movk_i32 s2, 0x4d
	v_fma_f64 v[43:44], v[60:61], s[6:7], v[70:71]
	v_fma_f64 v[8:9], v[82:83], s[6:7], v[45:46]
	;; [unrolled: 1-line block ×5, first 2 shown]
	v_mov_b32_e32 v45, 0x1860
	v_cmp_lt_u32_e64 s[2:3], s2, v192
	v_cndmask_b32_e64 v45, 0, v45, s[2:3]
	v_lshlrev_b32_e32 v46, 4, v47
	v_add3_u32 v45, 0, v45, v46
	ds_write_b128 v45, v[12:15]
	ds_write_b128 v45, v[17:20] offset:1248
	ds_write_b128 v45, v[25:28] offset:2496
	;; [unrolled: 1-line block ×4, first 2 shown]
	v_mul_u32_u24_e32 v12, 0x1860, v106
	v_lshlrev_b32_sdwa v13, v16, v107 dst_sel:DWORD dst_unused:UNUSED_PAD src0_sel:DWORD src1_sel:BYTE_0
	v_add3_u32 v12, 0, v12, v13
	ds_write_b128 v12, v[33:36]
	ds_write_b128 v12, v[37:40] offset:1248
	ds_write_b128 v12, v[41:44] offset:2496
	;; [unrolled: 1-line block ×4, first 2 shown]
	s_waitcnt lgkmcnt(0)
	s_barrier
	ds_read_b128 v[12:15], v48
	ds_read_b128 v[24:27], v48 offset:6240
	ds_read_b128 v[28:31], v48 offset:12480
	;; [unrolled: 1-line block ×3, first 2 shown]
	ds_read_b128 v[20:23], v51
	ds_read_b128 v[36:39], v48 offset:8112
	ds_read_b128 v[40:43], v48 offset:9984
	ds_read_b128 v[16:19], v50
	ds_read_b128 v[44:47], v48 offset:16224
	s_and_saveexec_b64 s[2:3], s[0:1]
	s_cbranch_execz .LBB0_23
; %bb.22:
	ds_read_b128 v[8:11], v49
	ds_read_b128 v[0:3], v48 offset:11856
	ds_read_b128 v[4:7], v48 offset:18096
.LBB0_23:
	s_or_b64 exec, exec, s[2:3]
	s_and_saveexec_b64 s[2:3], vcc
	s_cbranch_execz .LBB0_26
; %bb.24:
	v_lshlrev_b32_e32 v48, 1, v195
	v_mov_b32_e32 v49, 0
	v_lshlrev_b64 v[50:51], 4, v[48:49]
	v_mov_b32_e32 v48, s9
	v_add_co_u32_e32 v50, vcc, s8, v50
	v_addc_co_u32_e32 v51, vcc, v48, v51, vcc
	s_movk_i32 s2, 0x1840
	v_add_co_u32_e32 v65, vcc, s2, v50
	v_addc_co_u32_e32 v66, vcc, 0, v51, vcc
	s_movk_i32 s6, 0x1000
	v_add_co_u32_e32 v67, vcc, s6, v50
	v_addc_co_u32_e32 v68, vcc, 0, v51, vcc
	v_lshlrev_b32_e32 v64, 1, v194
	global_load_dwordx4 v[50:53], v[67:68], off offset:2112
	global_load_dwordx4 v[60:63], v[65:66], off offset:16
	v_mov_b32_e32 v65, v49
	v_lshlrev_b64 v[64:65], 4, v[64:65]
	v_lshlrev_b32_e32 v54, 1, v192
	v_add_co_u32_e32 v55, vcc, s8, v64
	v_addc_co_u32_e32 v64, vcc, v48, v65, vcc
	v_add_co_u32_e32 v72, vcc, s2, v55
	v_addc_co_u32_e32 v73, vcc, 0, v64, vcc
	;; [unrolled: 2-line block ×3, first 2 shown]
	v_mov_b32_e32 v55, v49
	global_load_dwordx4 v[64:67], v[74:75], off offset:2112
	global_load_dwordx4 v[68:71], v[72:73], off offset:16
	v_lshlrev_b64 v[54:55], 4, v[54:55]
	v_mul_lo_u32 v59, s4, v59
	v_add_co_u32_e32 v72, vcc, s8, v54
	v_addc_co_u32_e32 v48, vcc, v48, v55, vcc
	v_add_co_u32_e32 v54, vcc, s2, v72
	v_addc_co_u32_e32 v55, vcc, 0, v48, vcc
	;; [unrolled: 2-line block ×3, first 2 shown]
	global_load_dwordx4 v[72:75], v[80:81], off offset:2112
	global_load_dwordx4 v[76:79], v[54:55], off offset:16
	v_mul_lo_u32 v48, s5, v58
	v_mad_u64_u32 v[54:55], s[2:3], s4, v58, 0
	s_mov_b32 s2, 0xe8584caa
	s_mov_b32 s3, 0xbfebb67a
	v_add3_u32 v55, v55, v59, v48
	s_mov_b32 s5, 0x3febb67a
	s_mov_b32 s4, s2
	;; [unrolled: 1-line block ×3, first 2 shown]
	s_movk_i32 s13, 0x492
	s_movk_i32 s7, 0x186
	s_waitcnt vmcnt(5) lgkmcnt(2)
	v_mul_f64 v[58:59], v[40:41], v[52:53]
	s_waitcnt vmcnt(4) lgkmcnt(0)
	v_mul_f64 v[80:81], v[44:45], v[62:63]
	v_mul_f64 v[52:53], v[42:43], v[52:53]
	;; [unrolled: 1-line block ×3, first 2 shown]
	v_fma_f64 v[42:43], v[42:43], v[50:51], -v[58:59]
	v_fma_f64 v[46:47], v[46:47], v[60:61], -v[80:81]
	v_fma_f64 v[40:41], v[40:41], v[50:51], v[52:53]
	v_fma_f64 v[44:45], v[44:45], v[60:61], v[62:63]
	s_waitcnt vmcnt(3)
	v_mul_f64 v[82:83], v[36:37], v[66:67]
	s_waitcnt vmcnt(2)
	v_mul_f64 v[84:85], v[32:33], v[70:71]
	v_mul_f64 v[66:67], v[38:39], v[66:67]
	;; [unrolled: 1-line block ×3, first 2 shown]
	v_fma_f64 v[38:39], v[38:39], v[64:65], -v[82:83]
	v_fma_f64 v[34:35], v[34:35], v[68:69], -v[84:85]
	v_fma_f64 v[36:37], v[36:37], v[64:65], v[66:67]
	v_fma_f64 v[32:33], v[32:33], v[68:69], v[70:71]
	s_waitcnt vmcnt(1)
	v_mul_f64 v[86:87], v[24:25], v[74:75]
	s_waitcnt vmcnt(0)
	v_mul_f64 v[88:89], v[28:29], v[78:79]
	v_mul_f64 v[74:75], v[26:27], v[74:75]
	;; [unrolled: 1-line block ×3, first 2 shown]
	v_add_f64 v[62:63], v[38:39], v[34:35]
	v_add_f64 v[66:67], v[18:19], v[38:39]
	v_add_f64 v[68:69], v[38:39], -v[34:35]
	v_add_f64 v[38:39], v[36:37], v[32:33]
	v_fma_f64 v[50:51], v[26:27], v[72:73], -v[86:87]
	v_fma_f64 v[52:53], v[30:31], v[76:77], -v[88:89]
	v_fma_f64 v[58:59], v[24:25], v[72:73], v[74:75]
	v_fma_f64 v[60:61], v[28:29], v[76:77], v[78:79]
	v_add_f64 v[24:25], v[42:43], v[46:47]
	v_add_f64 v[28:29], v[40:41], -v[44:45]
	v_add_f64 v[26:27], v[22:23], v[42:43]
	v_add_f64 v[30:31], v[40:41], v[44:45]
	;; [unrolled: 1-line block ×3, first 2 shown]
	v_add_f64 v[42:43], v[42:43], -v[46:47]
	v_add_f64 v[64:65], v[36:37], -v[32:33]
	v_add_f64 v[70:71], v[50:51], v[52:53]
	v_fma_f64 v[24:25], v[24:25], -0.5, v[22:23]
	v_add_f64 v[36:37], v[16:17], v[36:37]
	v_add_f64 v[22:23], v[26:27], v[46:47]
	v_fma_f64 v[46:47], v[30:31], -0.5, v[20:21]
	v_add_f64 v[20:21], v[40:41], v[44:45]
	v_fma_f64 v[40:41], v[62:63], -0.5, v[18:19]
	;; [unrolled: 2-line block ×4, first 2 shown]
	v_add_f64 v[14:15], v[14:15], v[50:51]
	v_add_f64 v[16:17], v[36:37], v[32:33]
	v_add_f64 v[72:73], v[58:59], -v[60:61]
	v_fma_f64 v[34:35], v[64:65], s[2:3], v[40:41]
	v_fma_f64 v[38:39], v[64:65], s[4:5], v[40:41]
	v_lshrrev_b32_e32 v40, 1, v192
	v_mul_hi_u32 v40, v40, s12
	v_fma_f64 v[32:33], v[68:69], s[4:5], v[44:45]
	v_fma_f64 v[36:37], v[68:69], s[2:3], v[44:45]
	v_add_f64 v[44:45], v[50:51], -v[52:53]
	v_lshrrev_b32_e32 v40, 7, v40
	v_mul_u32_u24_e32 v40, 0x186, v40
	v_fma_f64 v[50:51], v[74:75], -0.5, v[12:13]
	v_add_f64 v[12:13], v[12:13], v[58:59]
	v_sub_u32_e32 v48, v192, v40
	v_mad_u64_u32 v[58:59], s[10:11], s20, v48, 0
	v_add_f64 v[52:53], v[14:15], v[52:53]
	v_fma_f64 v[26:27], v[28:29], s[2:3], v[24:25]
	v_mov_b32_e32 v14, v59
	v_mad_u64_u32 v[14:15], s[10:11], s21, v48, v[14:15]
	v_fma_f64 v[40:41], v[44:45], s[4:5], v[50:51]
	v_fma_f64 v[44:45], v[44:45], s[2:3], v[50:51]
	v_add_f64 v[50:51], v[12:13], v[60:61]
	v_lshlrev_b64 v[12:13], 4, v[54:55]
	v_mov_b32_e32 v59, v14
	v_mov_b32_e32 v14, s15
	v_add_co_u32_e32 v54, vcc, s14, v12
	v_addc_co_u32_e32 v55, vcc, v14, v13, vcc
	v_lshlrev_b64 v[12:13], 4, v[56:57]
	v_add_u32_e32 v56, 0x186, v48
	v_add_co_u32_e32 v12, vcc, v54, v12
	v_addc_co_u32_e32 v13, vcc, v55, v13, vcc
	v_lshlrev_b64 v[54:55], 4, v[58:59]
	v_mad_u64_u32 v[14:15], s[10:11], s20, v56, 0
	v_add_co_u32_e32 v54, vcc, v12, v54
	v_addc_co_u32_e32 v55, vcc, v13, v55, vcc
	global_store_dwordx4 v[54:55], v[50:53], off
	v_mad_u64_u32 v[56:57], s[10:11], s21, v56, v[15:16]
	v_add_u32_e32 v52, 0x30c, v48
	v_mad_u64_u32 v[50:51], s[10:11], s20, v52, 0
	v_fma_f64 v[30:31], v[28:29], s[4:5], v[24:25]
	v_fma_f64 v[24:25], v[42:43], s[4:5], v[46:47]
	;; [unrolled: 1-line block ×4, first 2 shown]
	v_mov_b32_e32 v48, v51
	v_mad_u64_u32 v[51:52], s[10:11], s21, v52, v[48:49]
	v_add_u32_e32 v48, 0x75, v192
	v_mov_b32_e32 v15, v56
	v_lshrrev_b32_e32 v52, 1, v48
	v_lshlrev_b64 v[14:15], 4, v[14:15]
	v_mul_hi_u32 v52, v52, s12
	v_add_co_u32_e32 v14, vcc, v12, v14
	v_addc_co_u32_e32 v15, vcc, v13, v15, vcc
	global_store_dwordx4 v[14:15], v[44:47], off
	v_fma_f64 v[42:43], v[72:73], s[2:3], v[62:63]
	v_lshrrev_b32_e32 v44, 7, v52
	v_mul_u32_u24_e32 v45, 0x186, v44
	v_sub_u32_e32 v45, v48, v45
	v_mad_u32_u24 v48, v44, s13, v45
	v_mad_u64_u32 v[44:45], s[10:11], s20, v48, 0
	v_lshlrev_b64 v[14:15], 4, v[50:51]
	v_add_u32_e32 v50, 0x186, v48
	v_mad_u64_u32 v[45:46], s[10:11], s21, v48, v[45:46]
	v_mad_u64_u32 v[46:47], s[10:11], s20, v50, 0
	v_add_co_u32_e32 v14, vcc, v12, v14
	v_addc_co_u32_e32 v15, vcc, v13, v15, vcc
	global_store_dwordx4 v[14:15], v[40:43], off
	v_lshlrev_b64 v[14:15], 4, v[44:45]
	v_mov_b32_e32 v40, v47
	v_mad_u64_u32 v[40:41], s[10:11], s21, v50, v[40:41]
	v_add_co_u32_e32 v14, vcc, v12, v14
	v_addc_co_u32_e32 v15, vcc, v13, v15, vcc
	global_store_dwordx4 v[14:15], v[16:19], off
	v_mov_b32_e32 v47, v40
	v_add_u32_e32 v18, 0x30c, v48
	v_add_u32_e32 v19, 0xea, v192
	v_mad_u64_u32 v[16:17], s[10:11], s20, v18, 0
	v_lshrrev_b32_e32 v40, 1, v19
	v_mul_hi_u32 v40, v40, s12
	v_mad_u64_u32 v[17:18], s[10:11], s21, v18, v[17:18]
	v_lshlrev_b64 v[14:15], 4, v[46:47]
	v_lshrrev_b32_e32 v18, 7, v40
	v_mul_u32_u24_e32 v40, 0x186, v18
	v_sub_u32_e32 v19, v19, v40
	v_mad_u32_u24 v40, v18, s13, v19
	v_mad_u64_u32 v[18:19], s[10:11], s20, v40, 0
	v_add_co_u32_e32 v14, vcc, v12, v14
	v_addc_co_u32_e32 v15, vcc, v13, v15, vcc
	global_store_dwordx4 v[14:15], v[36:39], off
	v_lshlrev_b64 v[14:15], 4, v[16:17]
	v_mov_b32_e32 v16, v19
	v_mad_u64_u32 v[16:17], s[10:11], s21, v40, v[16:17]
	v_add_co_u32_e32 v14, vcc, v12, v14
	v_addc_co_u32_e32 v15, vcc, v13, v15, vcc
	v_mov_b32_e32 v19, v16
	global_store_dwordx4 v[14:15], v[32:35], off
	v_lshlrev_b64 v[14:15], 4, v[18:19]
	v_add_u32_e32 v18, 0x186, v40
	v_mad_u64_u32 v[16:17], s[10:11], s20, v18, 0
	v_add_u32_e32 v32, 0x30c, v40
	v_add_co_u32_e32 v14, vcc, v12, v14
	v_mad_u64_u32 v[17:18], s[10:11], s21, v18, v[17:18]
	v_mad_u64_u32 v[18:19], s[10:11], s20, v32, 0
	v_addc_co_u32_e32 v15, vcc, v13, v15, vcc
	global_store_dwordx4 v[14:15], v[20:23], off
	v_lshlrev_b64 v[14:15], 4, v[16:17]
	v_mov_b32_e32 v16, v19
	v_mad_u64_u32 v[16:17], s[10:11], s21, v32, v[16:17]
	v_add_co_u32_e32 v14, vcc, v12, v14
	v_addc_co_u32_e32 v15, vcc, v13, v15, vcc
	v_mov_b32_e32 v19, v16
	global_store_dwordx4 v[14:15], v[28:31], off
	v_lshlrev_b64 v[14:15], 4, v[18:19]
	v_add_co_u32_e32 v14, vcc, v12, v14
	v_addc_co_u32_e32 v15, vcc, v13, v15, vcc
	global_store_dwordx4 v[14:15], v[24:27], off
	v_add_u32_e32 v14, 0x15f, v192
	v_cmp_gt_u32_e32 vcc, s7, v14
	s_and_b64 exec, exec, vcc
	s_cbranch_execz .LBB0_26
; %bb.25:
	v_subrev_u32_e32 v15, 39, v192
	v_cndmask_b32_e64 v15, v15, v193, s[0:1]
	v_lshlrev_b32_e32 v48, 1, v15
	v_lshlrev_b64 v[15:16], 4, v[48:49]
	v_mov_b32_e32 v17, s9
	v_add_co_u32_e32 v15, vcc, s8, v15
	v_addc_co_u32_e32 v20, vcc, v17, v16, vcc
	v_add_co_u32_e32 v19, vcc, 0x1840, v15
	s_mov_b64 s[0:1], vcc
	v_add_co_u32_e32 v15, vcc, s6, v15
	v_addc_co_u32_e32 v16, vcc, 0, v20, vcc
	v_addc_co_u32_e64 v20, vcc, 0, v20, s[0:1]
	global_load_dwordx4 v[15:18], v[15:16], off offset:2112
	v_add_u32_e32 v34, 0x2e5, v192
	global_load_dwordx4 v[19:22], v[19:20], off offset:16
	v_mad_u64_u32 v[23:24], s[0:1], s20, v14, 0
	v_mad_u64_u32 v[25:26], s[0:1], s20, v34, 0
	v_add_u32_e32 v36, 0x46b, v192
	v_mad_u64_u32 v[27:28], s[0:1], s20, v36, 0
	v_mad_u64_u32 v[29:30], s[0:1], s21, v14, v[24:25]
	v_mov_b32_e32 v14, v26
	v_mov_b32_e32 v24, v28
	s_waitcnt vmcnt(1)
	v_mul_f64 v[30:31], v[2:3], v[17:18]
	v_mul_f64 v[17:18], v[0:1], v[17:18]
	s_waitcnt vmcnt(0)
	v_mul_f64 v[32:33], v[6:7], v[21:22]
	v_mul_f64 v[21:22], v[4:5], v[21:22]
	v_mad_u64_u32 v[34:35], s[0:1], s21, v34, v[14:15]
	v_fma_f64 v[0:1], v[0:1], v[15:16], v[30:31]
	v_fma_f64 v[2:3], v[2:3], v[15:16], -v[17:18]
	v_fma_f64 v[4:5], v[4:5], v[19:20], v[32:33]
	v_fma_f64 v[6:7], v[6:7], v[19:20], -v[21:22]
	v_mad_u64_u32 v[14:15], s[0:1], s21, v36, v[24:25]
	v_mov_b32_e32 v24, v29
	v_mov_b32_e32 v26, v34
	v_mov_b32_e32 v28, v14
	v_lshlrev_b64 v[15:16], 4, v[23:24]
	v_add_f64 v[17:18], v[0:1], v[4:5]
	v_add_f64 v[19:20], v[2:3], v[6:7]
	v_lshlrev_b64 v[21:22], 4, v[25:26]
	v_lshlrev_b64 v[23:24], 4, v[27:28]
	v_add_f64 v[25:26], v[8:9], v[0:1]
	v_add_f64 v[27:28], v[2:3], -v[6:7]
	v_add_f64 v[2:3], v[10:11], v[2:3]
	v_add_f64 v[29:30], v[0:1], -v[4:5]
	v_fma_f64 v[8:9], v[17:18], -0.5, v[8:9]
	v_fma_f64 v[10:11], v[19:20], -0.5, v[10:11]
	v_add_co_u32_e32 v14, vcc, v12, v15
	v_add_f64 v[0:1], v[25:26], v[4:5]
	v_addc_co_u32_e32 v15, vcc, v13, v16, vcc
	v_add_f64 v[2:3], v[2:3], v[6:7]
	v_fma_f64 v[4:5], v[27:28], s[2:3], v[8:9]
	v_fma_f64 v[6:7], v[29:30], s[4:5], v[10:11]
	;; [unrolled: 1-line block ×4, first 2 shown]
	v_add_co_u32_e32 v16, vcc, v12, v21
	v_addc_co_u32_e32 v17, vcc, v13, v22, vcc
	v_add_co_u32_e32 v12, vcc, v12, v23
	v_addc_co_u32_e32 v13, vcc, v13, v24, vcc
	global_store_dwordx4 v[14:15], v[0:3], off
	global_store_dwordx4 v[16:17], v[4:7], off
	;; [unrolled: 1-line block ×3, first 2 shown]
.LBB0_26:
	s_endpgm
	.section	.rodata,"a",@progbits
	.p2align	6, 0x0
	.amdhsa_kernel fft_rtc_back_len1170_factors_2_13_3_5_3_wgs_117_tpt_117_dp_op_CI_CI_sbrr_dirReg
		.amdhsa_group_segment_fixed_size 0
		.amdhsa_private_segment_fixed_size 0
		.amdhsa_kernarg_size 104
		.amdhsa_user_sgpr_count 6
		.amdhsa_user_sgpr_private_segment_buffer 1
		.amdhsa_user_sgpr_dispatch_ptr 0
		.amdhsa_user_sgpr_queue_ptr 0
		.amdhsa_user_sgpr_kernarg_segment_ptr 1
		.amdhsa_user_sgpr_dispatch_id 0
		.amdhsa_user_sgpr_flat_scratch_init 0
		.amdhsa_user_sgpr_private_segment_size 0
		.amdhsa_uses_dynamic_stack 0
		.amdhsa_system_sgpr_private_segment_wavefront_offset 0
		.amdhsa_system_sgpr_workgroup_id_x 1
		.amdhsa_system_sgpr_workgroup_id_y 0
		.amdhsa_system_sgpr_workgroup_id_z 0
		.amdhsa_system_sgpr_workgroup_info 0
		.amdhsa_system_vgpr_workitem_id 0
		.amdhsa_next_free_vgpr 256
		.amdhsa_next_free_sgpr 48
		.amdhsa_reserve_vcc 1
		.amdhsa_reserve_flat_scratch 0
		.amdhsa_float_round_mode_32 0
		.amdhsa_float_round_mode_16_64 0
		.amdhsa_float_denorm_mode_32 3
		.amdhsa_float_denorm_mode_16_64 3
		.amdhsa_dx10_clamp 1
		.amdhsa_ieee_mode 1
		.amdhsa_fp16_overflow 0
		.amdhsa_exception_fp_ieee_invalid_op 0
		.amdhsa_exception_fp_denorm_src 0
		.amdhsa_exception_fp_ieee_div_zero 0
		.amdhsa_exception_fp_ieee_overflow 0
		.amdhsa_exception_fp_ieee_underflow 0
		.amdhsa_exception_fp_ieee_inexact 0
		.amdhsa_exception_int_div_zero 0
	.end_amdhsa_kernel
	.text
.Lfunc_end0:
	.size	fft_rtc_back_len1170_factors_2_13_3_5_3_wgs_117_tpt_117_dp_op_CI_CI_sbrr_dirReg, .Lfunc_end0-fft_rtc_back_len1170_factors_2_13_3_5_3_wgs_117_tpt_117_dp_op_CI_CI_sbrr_dirReg
                                        ; -- End function
	.section	.AMDGPU.csdata,"",@progbits
; Kernel info:
; codeLenInByte = 11772
; NumSgprs: 52
; NumVgprs: 256
; ScratchSize: 0
; MemoryBound: 1
; FloatMode: 240
; IeeeMode: 1
; LDSByteSize: 0 bytes/workgroup (compile time only)
; SGPRBlocks: 6
; VGPRBlocks: 63
; NumSGPRsForWavesPerEU: 52
; NumVGPRsForWavesPerEU: 256
; Occupancy: 1
; WaveLimiterHint : 1
; COMPUTE_PGM_RSRC2:SCRATCH_EN: 0
; COMPUTE_PGM_RSRC2:USER_SGPR: 6
; COMPUTE_PGM_RSRC2:TRAP_HANDLER: 0
; COMPUTE_PGM_RSRC2:TGID_X_EN: 1
; COMPUTE_PGM_RSRC2:TGID_Y_EN: 0
; COMPUTE_PGM_RSRC2:TGID_Z_EN: 0
; COMPUTE_PGM_RSRC2:TIDIG_COMP_CNT: 0
	.type	__hip_cuid_1199feaeeaea390d,@object ; @__hip_cuid_1199feaeeaea390d
	.section	.bss,"aw",@nobits
	.globl	__hip_cuid_1199feaeeaea390d
__hip_cuid_1199feaeeaea390d:
	.byte	0                               ; 0x0
	.size	__hip_cuid_1199feaeeaea390d, 1

	.ident	"AMD clang version 19.0.0git (https://github.com/RadeonOpenCompute/llvm-project roc-6.4.0 25133 c7fe45cf4b819c5991fe208aaa96edf142730f1d)"
	.section	".note.GNU-stack","",@progbits
	.addrsig
	.addrsig_sym __hip_cuid_1199feaeeaea390d
	.amdgpu_metadata
---
amdhsa.kernels:
  - .args:
      - .actual_access:  read_only
        .address_space:  global
        .offset:         0
        .size:           8
        .value_kind:     global_buffer
      - .offset:         8
        .size:           8
        .value_kind:     by_value
      - .actual_access:  read_only
        .address_space:  global
        .offset:         16
        .size:           8
        .value_kind:     global_buffer
      - .actual_access:  read_only
        .address_space:  global
        .offset:         24
        .size:           8
        .value_kind:     global_buffer
      - .actual_access:  read_only
        .address_space:  global
        .offset:         32
        .size:           8
        .value_kind:     global_buffer
      - .offset:         40
        .size:           8
        .value_kind:     by_value
      - .actual_access:  read_only
        .address_space:  global
        .offset:         48
        .size:           8
        .value_kind:     global_buffer
      - .actual_access:  read_only
        .address_space:  global
        .offset:         56
        .size:           8
        .value_kind:     global_buffer
      - .offset:         64
        .size:           4
        .value_kind:     by_value
      - .actual_access:  read_only
        .address_space:  global
        .offset:         72
        .size:           8
        .value_kind:     global_buffer
      - .actual_access:  read_only
        .address_space:  global
        .offset:         80
        .size:           8
        .value_kind:     global_buffer
      - .actual_access:  read_only
        .address_space:  global
        .offset:         88
        .size:           8
        .value_kind:     global_buffer
      - .actual_access:  write_only
        .address_space:  global
        .offset:         96
        .size:           8
        .value_kind:     global_buffer
    .group_segment_fixed_size: 0
    .kernarg_segment_align: 8
    .kernarg_segment_size: 104
    .language:       OpenCL C
    .language_version:
      - 2
      - 0
    .max_flat_workgroup_size: 117
    .name:           fft_rtc_back_len1170_factors_2_13_3_5_3_wgs_117_tpt_117_dp_op_CI_CI_sbrr_dirReg
    .private_segment_fixed_size: 0
    .sgpr_count:     52
    .sgpr_spill_count: 0
    .symbol:         fft_rtc_back_len1170_factors_2_13_3_5_3_wgs_117_tpt_117_dp_op_CI_CI_sbrr_dirReg.kd
    .uniform_work_group_size: 1
    .uses_dynamic_stack: false
    .vgpr_count:     256
    .vgpr_spill_count: 0
    .wavefront_size: 64
amdhsa.target:   amdgcn-amd-amdhsa--gfx906
amdhsa.version:
  - 1
  - 2
...

	.end_amdgpu_metadata
